;; amdgpu-corpus repo=ROCm/rocFFT kind=compiled arch=gfx1201 opt=O3
	.text
	.amdgcn_target "amdgcn-amd-amdhsa--gfx1201"
	.amdhsa_code_object_version 6
	.protected	fft_rtc_back_len595_factors_7_17_5_wgs_51_tpt_17_halfLds_sp_op_CI_CI_sbrr_dirReg ; -- Begin function fft_rtc_back_len595_factors_7_17_5_wgs_51_tpt_17_halfLds_sp_op_CI_CI_sbrr_dirReg
	.globl	fft_rtc_back_len595_factors_7_17_5_wgs_51_tpt_17_halfLds_sp_op_CI_CI_sbrr_dirReg
	.p2align	8
	.type	fft_rtc_back_len595_factors_7_17_5_wgs_51_tpt_17_halfLds_sp_op_CI_CI_sbrr_dirReg,@function
fft_rtc_back_len595_factors_7_17_5_wgs_51_tpt_17_halfLds_sp_op_CI_CI_sbrr_dirReg: ; @fft_rtc_back_len595_factors_7_17_5_wgs_51_tpt_17_halfLds_sp_op_CI_CI_sbrr_dirReg
; %bb.0:
	s_clause 0x1
	s_load_b128 s[12:15], s[0:1], 0x18
	s_load_b128 s[8:11], s[0:1], 0x0
	v_mul_u32_u24_e32 v1, 0xf10, v0
	v_mov_b32_e32 v4, 0
	v_mov_b32_e32 v14, 0
	v_mov_b32_e32 v15, 0
	s_load_b128 s[4:7], s[0:1], 0x58
	s_wait_kmcnt 0x0
	s_load_b64 s[18:19], s[12:13], 0x0
	s_load_b64 s[16:17], s[14:15], 0x0
	v_lshrrev_b32_e32 v1, 16, v1
	v_cmp_lt_u64_e64 s2, s[10:11], 2
	v_dual_mov_b32 v17, v15 :: v_dual_mov_b32 v16, v14
	s_delay_alu instid0(VALU_DEP_3) | instskip(SKIP_1) | instid1(VALU_DEP_4)
	v_mad_co_u64_u32 v[2:3], null, ttmp9, 3, v[1:2]
	v_mov_b32_e32 v3, v4
	s_and_b32 vcc_lo, exec_lo, s2
	s_delay_alu instid0(VALU_DEP_1)
	v_dual_mov_b32 v19, v3 :: v_dual_mov_b32 v18, v2
	s_cbranch_vccnz .LBB0_8
; %bb.1:
	s_load_b64 s[2:3], s[0:1], 0x10
	v_dual_mov_b32 v14, 0 :: v_dual_mov_b32 v7, v3
	v_dual_mov_b32 v15, 0 :: v_dual_mov_b32 v6, v2
	s_add_nc_u64 s[20:21], s[14:15], 8
	s_add_nc_u64 s[22:23], s[12:13], 8
	s_mov_b64 s[24:25], 1
	s_delay_alu instid0(VALU_DEP_1)
	v_dual_mov_b32 v17, v15 :: v_dual_mov_b32 v16, v14
	s_wait_kmcnt 0x0
	s_add_nc_u64 s[26:27], s[2:3], 8
	s_mov_b32 s3, 0
.LBB0_2:                                ; =>This Inner Loop Header: Depth=1
	s_load_b64 s[28:29], s[26:27], 0x0
                                        ; implicit-def: $vgpr18_vgpr19
	s_mov_b32 s2, exec_lo
	s_wait_kmcnt 0x0
	v_or_b32_e32 v5, s29, v7
	s_delay_alu instid0(VALU_DEP_1)
	v_cmpx_ne_u64_e32 0, v[4:5]
	s_wait_alu 0xfffe
	s_xor_b32 s30, exec_lo, s2
	s_cbranch_execz .LBB0_4
; %bb.3:                                ;   in Loop: Header=BB0_2 Depth=1
	s_cvt_f32_u32 s2, s28
	s_cvt_f32_u32 s31, s29
	s_sub_nc_u64 s[36:37], 0, s[28:29]
	s_wait_alu 0xfffe
	s_delay_alu instid0(SALU_CYCLE_1) | instskip(SKIP_1) | instid1(SALU_CYCLE_2)
	s_fmamk_f32 s2, s31, 0x4f800000, s2
	s_wait_alu 0xfffe
	v_s_rcp_f32 s2, s2
	s_delay_alu instid0(TRANS32_DEP_1) | instskip(SKIP_1) | instid1(SALU_CYCLE_2)
	s_mul_f32 s2, s2, 0x5f7ffffc
	s_wait_alu 0xfffe
	s_mul_f32 s31, s2, 0x2f800000
	s_wait_alu 0xfffe
	s_delay_alu instid0(SALU_CYCLE_2) | instskip(SKIP_1) | instid1(SALU_CYCLE_2)
	s_trunc_f32 s31, s31
	s_wait_alu 0xfffe
	s_fmamk_f32 s2, s31, 0xcf800000, s2
	s_cvt_u32_f32 s35, s31
	s_wait_alu 0xfffe
	s_delay_alu instid0(SALU_CYCLE_1) | instskip(SKIP_1) | instid1(SALU_CYCLE_2)
	s_cvt_u32_f32 s34, s2
	s_wait_alu 0xfffe
	s_mul_u64 s[38:39], s[36:37], s[34:35]
	s_wait_alu 0xfffe
	s_mul_hi_u32 s41, s34, s39
	s_mul_i32 s40, s34, s39
	s_mul_hi_u32 s2, s34, s38
	s_mul_i32 s33, s35, s38
	s_wait_alu 0xfffe
	s_add_nc_u64 s[40:41], s[2:3], s[40:41]
	s_mul_hi_u32 s31, s35, s38
	s_mul_hi_u32 s42, s35, s39
	s_add_co_u32 s2, s40, s33
	s_wait_alu 0xfffe
	s_add_co_ci_u32 s2, s41, s31
	s_mul_i32 s38, s35, s39
	s_add_co_ci_u32 s39, s42, 0
	s_wait_alu 0xfffe
	s_add_nc_u64 s[38:39], s[2:3], s[38:39]
	s_wait_alu 0xfffe
	v_add_co_u32 v1, s2, s34, s38
	s_delay_alu instid0(VALU_DEP_1) | instskip(SKIP_1) | instid1(VALU_DEP_1)
	s_cmp_lg_u32 s2, 0
	s_add_co_ci_u32 s35, s35, s39
	v_readfirstlane_b32 s34, v1
	s_wait_alu 0xfffe
	s_delay_alu instid0(VALU_DEP_1)
	s_mul_u64 s[36:37], s[36:37], s[34:35]
	s_wait_alu 0xfffe
	s_mul_hi_u32 s39, s34, s37
	s_mul_i32 s38, s34, s37
	s_mul_hi_u32 s2, s34, s36
	s_mul_i32 s33, s35, s36
	s_wait_alu 0xfffe
	s_add_nc_u64 s[38:39], s[2:3], s[38:39]
	s_mul_hi_u32 s31, s35, s36
	s_mul_hi_u32 s34, s35, s37
	s_wait_alu 0xfffe
	s_add_co_u32 s2, s38, s33
	s_add_co_ci_u32 s2, s39, s31
	s_mul_i32 s36, s35, s37
	s_add_co_ci_u32 s37, s34, 0
	s_wait_alu 0xfffe
	s_add_nc_u64 s[36:37], s[2:3], s[36:37]
	s_wait_alu 0xfffe
	v_add_co_u32 v1, s2, v1, s36
	s_delay_alu instid0(VALU_DEP_1) | instskip(SKIP_1) | instid1(VALU_DEP_1)
	s_cmp_lg_u32 s2, 0
	s_add_co_ci_u32 s2, s35, s37
	v_mul_hi_u32 v3, v6, v1
	s_wait_alu 0xfffe
	v_mad_co_u64_u32 v[8:9], null, v6, s2, 0
	v_mad_co_u64_u32 v[10:11], null, v7, v1, 0
	;; [unrolled: 1-line block ×3, first 2 shown]
	s_delay_alu instid0(VALU_DEP_3) | instskip(SKIP_1) | instid1(VALU_DEP_4)
	v_add_co_u32 v1, vcc_lo, v3, v8
	s_wait_alu 0xfffd
	v_add_co_ci_u32_e32 v3, vcc_lo, 0, v9, vcc_lo
	s_delay_alu instid0(VALU_DEP_2) | instskip(SKIP_1) | instid1(VALU_DEP_2)
	v_add_co_u32 v1, vcc_lo, v1, v10
	s_wait_alu 0xfffd
	v_add_co_ci_u32_e32 v1, vcc_lo, v3, v11, vcc_lo
	s_wait_alu 0xfffd
	v_add_co_ci_u32_e32 v3, vcc_lo, 0, v13, vcc_lo
	s_delay_alu instid0(VALU_DEP_2) | instskip(SKIP_1) | instid1(VALU_DEP_2)
	v_add_co_u32 v1, vcc_lo, v1, v12
	s_wait_alu 0xfffd
	v_add_co_ci_u32_e32 v3, vcc_lo, 0, v3, vcc_lo
	s_delay_alu instid0(VALU_DEP_2) | instskip(SKIP_1) | instid1(VALU_DEP_3)
	v_mul_lo_u32 v5, s29, v1
	v_mad_co_u64_u32 v[8:9], null, s28, v1, 0
	v_mul_lo_u32 v10, s28, v3
	s_delay_alu instid0(VALU_DEP_2) | instskip(NEXT) | instid1(VALU_DEP_2)
	v_sub_co_u32 v8, vcc_lo, v6, v8
	v_add3_u32 v5, v9, v10, v5
	s_delay_alu instid0(VALU_DEP_1) | instskip(SKIP_1) | instid1(VALU_DEP_1)
	v_sub_nc_u32_e32 v9, v7, v5
	s_wait_alu 0xfffd
	v_subrev_co_ci_u32_e64 v9, s2, s29, v9, vcc_lo
	v_add_co_u32 v10, s2, v1, 2
	s_wait_alu 0xf1ff
	v_add_co_ci_u32_e64 v11, s2, 0, v3, s2
	v_sub_co_u32 v12, s2, v8, s28
	v_sub_co_ci_u32_e32 v5, vcc_lo, v7, v5, vcc_lo
	s_wait_alu 0xf1ff
	v_subrev_co_ci_u32_e64 v9, s2, 0, v9, s2
	s_delay_alu instid0(VALU_DEP_3) | instskip(NEXT) | instid1(VALU_DEP_3)
	v_cmp_le_u32_e32 vcc_lo, s28, v12
	v_cmp_eq_u32_e64 s2, s29, v5
	s_wait_alu 0xfffd
	v_cndmask_b32_e64 v12, 0, -1, vcc_lo
	v_cmp_le_u32_e32 vcc_lo, s29, v9
	s_wait_alu 0xfffd
	v_cndmask_b32_e64 v13, 0, -1, vcc_lo
	v_cmp_le_u32_e32 vcc_lo, s28, v8
	;; [unrolled: 3-line block ×3, first 2 shown]
	s_wait_alu 0xfffd
	v_cndmask_b32_e64 v18, 0, -1, vcc_lo
	v_cmp_eq_u32_e32 vcc_lo, s29, v9
	s_wait_alu 0xf1ff
	s_delay_alu instid0(VALU_DEP_2)
	v_cndmask_b32_e64 v5, v18, v8, s2
	s_wait_alu 0xfffd
	v_cndmask_b32_e32 v9, v13, v12, vcc_lo
	v_add_co_u32 v12, vcc_lo, v1, 1
	s_wait_alu 0xfffd
	v_add_co_ci_u32_e32 v13, vcc_lo, 0, v3, vcc_lo
	s_delay_alu instid0(VALU_DEP_3) | instskip(SKIP_1) | instid1(VALU_DEP_2)
	v_cmp_ne_u32_e32 vcc_lo, 0, v9
	s_wait_alu 0xfffd
	v_dual_cndmask_b32 v8, v13, v11 :: v_dual_cndmask_b32 v9, v12, v10
	v_cmp_ne_u32_e32 vcc_lo, 0, v5
	s_wait_alu 0xfffd
	s_delay_alu instid0(VALU_DEP_2)
	v_dual_cndmask_b32 v19, v3, v8 :: v_dual_cndmask_b32 v18, v1, v9
.LBB0_4:                                ;   in Loop: Header=BB0_2 Depth=1
	s_wait_alu 0xfffe
	s_and_not1_saveexec_b32 s2, s30
	s_cbranch_execz .LBB0_6
; %bb.5:                                ;   in Loop: Header=BB0_2 Depth=1
	v_cvt_f32_u32_e32 v1, s28
	s_sub_co_i32 s30, 0, s28
	v_mov_b32_e32 v19, v4
	s_delay_alu instid0(VALU_DEP_2) | instskip(NEXT) | instid1(TRANS32_DEP_1)
	v_rcp_iflag_f32_e32 v1, v1
	v_mul_f32_e32 v1, 0x4f7ffffe, v1
	s_delay_alu instid0(VALU_DEP_1) | instskip(SKIP_1) | instid1(VALU_DEP_1)
	v_cvt_u32_f32_e32 v1, v1
	s_wait_alu 0xfffe
	v_mul_lo_u32 v3, s30, v1
	s_delay_alu instid0(VALU_DEP_1) | instskip(NEXT) | instid1(VALU_DEP_1)
	v_mul_hi_u32 v3, v1, v3
	v_add_nc_u32_e32 v1, v1, v3
	s_delay_alu instid0(VALU_DEP_1) | instskip(NEXT) | instid1(VALU_DEP_1)
	v_mul_hi_u32 v1, v6, v1
	v_mul_lo_u32 v3, v1, s28
	v_add_nc_u32_e32 v5, 1, v1
	s_delay_alu instid0(VALU_DEP_2) | instskip(NEXT) | instid1(VALU_DEP_1)
	v_sub_nc_u32_e32 v3, v6, v3
	v_cmp_le_u32_e32 vcc_lo, s28, v3
	v_subrev_nc_u32_e32 v8, s28, v3
	s_wait_alu 0xfffd
	v_cndmask_b32_e32 v1, v1, v5, vcc_lo
	s_delay_alu instid0(VALU_DEP_1) | instskip(NEXT) | instid1(VALU_DEP_3)
	v_add_nc_u32_e32 v5, 1, v1
	v_cndmask_b32_e32 v3, v3, v8, vcc_lo
	s_delay_alu instid0(VALU_DEP_1) | instskip(SKIP_1) | instid1(VALU_DEP_3)
	v_cmp_le_u32_e32 vcc_lo, s28, v3
	s_wait_alu 0xfffd
	v_cndmask_b32_e32 v18, v1, v5, vcc_lo
.LBB0_6:                                ;   in Loop: Header=BB0_2 Depth=1
	s_wait_alu 0xfffe
	s_or_b32 exec_lo, exec_lo, s2
	v_mul_lo_u32 v1, v19, s28
	s_delay_alu instid0(VALU_DEP_2)
	v_mul_lo_u32 v3, v18, s29
	s_load_b64 s[30:31], s[22:23], 0x0
	v_mad_co_u64_u32 v[8:9], null, v18, s28, 0
	s_load_b64 s[28:29], s[20:21], 0x0
	s_add_nc_u64 s[24:25], s[24:25], 1
	s_add_nc_u64 s[20:21], s[20:21], 8
	s_wait_alu 0xfffe
	v_cmp_ge_u64_e64 s2, s[24:25], s[10:11]
	s_add_nc_u64 s[22:23], s[22:23], 8
	s_add_nc_u64 s[26:27], s[26:27], 8
	v_add3_u32 v1, v9, v3, v1
	v_sub_co_u32 v3, vcc_lo, v6, v8
	s_wait_alu 0xfffd
	s_delay_alu instid0(VALU_DEP_2) | instskip(SKIP_2) | instid1(VALU_DEP_1)
	v_sub_co_ci_u32_e32 v1, vcc_lo, v7, v1, vcc_lo
	s_and_b32 vcc_lo, exec_lo, s2
	s_wait_kmcnt 0x0
	v_mul_lo_u32 v5, s30, v1
	v_mul_lo_u32 v6, s31, v3
	v_mad_co_u64_u32 v[14:15], null, s30, v3, v[14:15]
	v_mul_lo_u32 v1, s28, v1
	v_mul_lo_u32 v7, s29, v3
	v_mad_co_u64_u32 v[16:17], null, s28, v3, v[16:17]
	s_delay_alu instid0(VALU_DEP_4) | instskip(NEXT) | instid1(VALU_DEP_2)
	v_add3_u32 v15, v6, v15, v5
	v_add3_u32 v17, v7, v17, v1
	s_wait_alu 0xfffe
	s_cbranch_vccnz .LBB0_8
; %bb.7:                                ;   in Loop: Header=BB0_2 Depth=1
	v_dual_mov_b32 v6, v18 :: v_dual_mov_b32 v7, v19
	s_branch .LBB0_2
.LBB0_8:
	s_load_b64 s[0:1], s[0:1], 0x28
	v_mul_hi_u32 v3, 0xf0f0f10, v0
	s_lshl_b64 s[10:11], s[10:11], 3
                                        ; implicit-def: $sgpr2_sgpr3
                                        ; implicit-def: $vgpr122
                                        ; implicit-def: $vgpr123
                                        ; implicit-def: $vgpr126
                                        ; implicit-def: $vgpr127
                                        ; implicit-def: $vgpr129
	s_wait_kmcnt 0x0
	v_cmp_gt_u64_e32 vcc_lo, s[0:1], v[18:19]
	v_cmp_le_u64_e64 s0, s[0:1], v[18:19]
	s_delay_alu instid0(VALU_DEP_1)
	s_and_saveexec_b32 s1, s0
	s_wait_alu 0xfffe
	s_xor_b32 s0, exec_lo, s1
; %bb.9:
	v_mul_u32_u24_e32 v1, 17, v3
	s_mov_b64 s[2:3], 0
                                        ; implicit-def: $vgpr3
                                        ; implicit-def: $vgpr14_vgpr15
	s_delay_alu instid0(VALU_DEP_1) | instskip(NEXT) | instid1(VALU_DEP_1)
	v_sub_nc_u32_e32 v122, v0, v1
                                        ; implicit-def: $vgpr0
	v_add_nc_u32_e32 v123, 17, v122
	v_add_nc_u32_e32 v126, 34, v122
	;; [unrolled: 1-line block ×4, first 2 shown]
; %bb.10:
	s_wait_alu 0xfffe
	s_or_saveexec_b32 s1, s0
	v_dual_mov_b32 v5, s3 :: v_dual_mov_b32 v4, s2
	v_dual_mov_b32 v9, s3 :: v_dual_mov_b32 v8, s2
	;; [unrolled: 1-line block ×20, first 2 shown]
	s_add_nc_u64 s[2:3], s[14:15], s[10:11]
                                        ; implicit-def: $vgpr1
                                        ; implicit-def: $vgpr32
                                        ; implicit-def: $vgpr40
                                        ; implicit-def: $vgpr77
                                        ; implicit-def: $vgpr81
                                        ; implicit-def: $vgpr93
                                        ; implicit-def: $vgpr95
                                        ; implicit-def: $vgpr117
                                        ; implicit-def: $vgpr115
                                        ; implicit-def: $vgpr113
                                        ; implicit-def: $vgpr99
                                        ; implicit-def: $vgpr97
                                        ; implicit-def: $vgpr69
                                        ; implicit-def: $vgpr65
                                        ; implicit-def: $vgpr53
	s_wait_alu 0xfffe
	s_xor_b32 exec_lo, exec_lo, s1
	s_cbranch_execz .LBB0_12
; %bb.11:
	s_add_nc_u64 s[10:11], s[12:13], s[10:11]
	v_mul_u32_u24_e32 v1, 17, v3
	s_load_b64 s[10:11], s[10:11], 0x0
	v_lshlrev_b64_e32 v[12:13], 3, v[14:15]
	s_delay_alu instid0(VALU_DEP_2) | instskip(NEXT) | instid1(VALU_DEP_1)
	v_sub_nc_u32_e32 v122, v0, v1
	v_add_nc_u32_e32 v20, 0x55, v122
	v_add_nc_u32_e32 v22, 0xaa, v122
	v_mad_co_u64_u32 v[0:1], null, s18, v122, 0
	v_add_nc_u32_e32 v23, 0xff, v122
	s_delay_alu instid0(VALU_DEP_4) | instskip(NEXT) | instid1(VALU_DEP_4)
	v_mad_co_u64_u32 v[4:5], null, s18, v20, 0
	v_mad_co_u64_u32 v[6:7], null, s18, v22, 0
	s_delay_alu instid0(VALU_DEP_3)
	v_mad_co_u64_u32 v[8:9], null, s18, v23, 0
	s_wait_kmcnt 0x0
	v_mul_lo_u32 v21, s11, v18
	v_mul_lo_u32 v24, s10, v19
	v_mad_co_u64_u32 v[10:11], null, s10, v18, 0
	v_mad_co_u64_u32 v[14:15], null, s19, v122, v[1:2]
	v_mov_b32_e32 v1, v5
	v_mov_b32_e32 v3, v7
	;; [unrolled: 1-line block ×3, first 2 shown]
	v_add_nc_u32_e32 v25, 0x154, v122
	v_add3_u32 v11, v11, v24, v21
	v_mad_co_u64_u32 v[20:21], null, s19, v20, v[1:2]
	v_mov_b32_e32 v1, v14
	v_mad_co_u64_u32 v[14:15], null, s19, v22, v[3:4]
	s_delay_alu instid0(VALU_DEP_4)
	v_lshlrev_b64_e32 v[9:10], 3, v[10:11]
	v_mad_co_u64_u32 v[21:22], null, s19, v23, v[5:6]
	v_mov_b32_e32 v5, v20
	v_lshlrev_b64_e32 v[0:1], 3, v[0:1]
	v_add_nc_u32_e32 v15, 0x1a9, v122
	v_add_co_u32 v3, s0, s4, v9
	s_wait_alu 0xf1ff
	v_add_co_ci_u32_e64 v9, s0, s5, v10, s0
	v_mov_b32_e32 v7, v14
	s_delay_alu instid0(VALU_DEP_3) | instskip(SKIP_1) | instid1(VALU_DEP_3)
	v_add_co_u32 v3, s0, v3, v12
	s_wait_alu 0xf1ff
	v_add_co_ci_u32_e64 v14, s0, v9, v13, s0
	v_lshlrev_b64_e32 v[4:5], 3, v[4:5]
	s_delay_alu instid0(VALU_DEP_3)
	v_add_co_u32 v0, s0, v3, v0
	v_mad_co_u64_u32 v[10:11], null, s18, v25, 0
	v_lshlrev_b64_e32 v[6:7], 3, v[6:7]
	v_mad_co_u64_u32 v[12:13], null, s18, v15, 0
	s_wait_alu 0xf1ff
	v_add_co_ci_u32_e64 v1, s0, v14, v1, s0
	v_add_co_u32 v4, s0, v3, v4
	v_mov_b32_e32 v9, v21
	v_add_nc_u32_e32 v29, 0x1fe, v122
	s_wait_alu 0xf1ff
	v_add_co_ci_u32_e64 v5, s0, v14, v5, s0
	v_add_co_u32 v20, s0, v3, v6
	s_wait_alu 0xf1ff
	v_add_co_ci_u32_e64 v21, s0, v14, v7, s0
	v_lshlrev_b64_e32 v[6:7], 3, v[8:9]
	v_mad_co_u64_u32 v[8:9], null, s19, v25, v[11:12]
	v_dual_mov_b32 v9, v13 :: v_dual_add_nc_u32 v126, 34, v122
	v_mad_co_u64_u32 v[22:23], null, s18, v29, 0
	v_add_nc_u32_e32 v123, 17, v122
	s_delay_alu instid0(VALU_DEP_3) | instskip(SKIP_1) | instid1(VALU_DEP_3)
	v_mad_co_u64_u32 v[26:27], null, s19, v15, v[9:10]
	v_add_co_u32 v24, s0, v3, v6
	v_mad_co_u64_u32 v[27:28], null, s18, v123, 0
	v_mov_b32_e32 v13, v23
	v_mov_b32_e32 v11, v8
	s_wait_alu 0xf1ff
	v_add_co_ci_u32_e64 v25, s0, v14, v7, s0
	s_clause 0x3
	global_load_b64 v[6:7], v[0:1], off
	global_load_b64 v[4:5], v[4:5], off
	;; [unrolled: 1-line block ×4, first 2 shown]
	v_mad_co_u64_u32 v[20:21], null, s19, v29, v[13:14]
	v_mov_b32_e32 v13, v26
	v_lshlrev_b64_e32 v[10:11], 3, v[10:11]
	v_mov_b32_e32 v15, v28
	v_add_nc_u32_e32 v31, 0xbb, v122
	v_add_nc_u32_e32 v43, 0x165, v122
	v_lshlrev_b64_e32 v[12:13], 3, v[12:13]
	v_mov_b32_e32 v23, v20
	v_add_co_u32 v10, s0, v3, v10
	v_mad_co_u64_u32 v[20:21], null, s19, v123, v[15:16]
	v_add_nc_u32_e32 v15, 0x66, v122
	s_wait_alu 0xf1ff
	v_add_co_ci_u32_e64 v11, s0, v14, v11, s0
	v_add_co_u32 v24, s0, v3, v12
	s_wait_alu 0xf1ff
	v_add_co_ci_u32_e64 v25, s0, v14, v13, s0
	v_lshlrev_b64_e32 v[12:13], 3, v[22:23]
	v_mad_co_u64_u32 v[21:22], null, s18, v15, 0
	v_mad_co_u64_u32 v[29:30], null, s18, v31, 0
	v_mov_b32_e32 v28, v20
	s_delay_alu instid0(VALU_DEP_4) | instskip(SKIP_2) | instid1(VALU_DEP_4)
	v_add_co_u32 v33, s0, v3, v12
	s_wait_alu 0xf1ff
	v_add_co_ci_u32_e64 v34, s0, v14, v13, s0
	v_dual_mov_b32 v12, v22 :: v_dual_mov_b32 v13, v30
	v_add_nc_u32_e32 v20, 0x110, v122
	v_lshlrev_b64_e32 v[22:23], 3, v[27:28]
	v_mad_co_u64_u32 v[37:38], null, s18, v43, 0
	s_delay_alu instid0(VALU_DEP_4) | instskip(NEXT) | instid1(VALU_DEP_4)
	v_mad_co_u64_u32 v[26:27], null, s19, v15, v[12:13]
	v_mad_co_u64_u32 v[27:28], null, s18, v20, 0
	;; [unrolled: 1-line block ×3, first 2 shown]
	v_add_co_u32 v35, s0, v3, v22
	s_wait_alu 0xf1ff
	v_add_co_ci_u32_e64 v36, s0, v14, v23, s0
	s_delay_alu instid0(VALU_DEP_4) | instskip(NEXT) | instid1(VALU_DEP_4)
	v_mov_b32_e32 v13, v28
	v_dual_mov_b32 v15, v38 :: v_dual_mov_b32 v30, v12
	v_dual_mov_b32 v22, v26 :: v_dual_add_nc_u32 v127, 51, v122
	s_delay_alu instid0(VALU_DEP_3)
	v_mad_co_u64_u32 v[41:42], null, s19, v20, v[13:14]
	s_clause 0x3
	global_load_b64 v[12:13], v[10:11], off
	global_load_b64 v[31:32], v[24:25], off
	;; [unrolled: 1-line block ×4, first 2 shown]
	v_add_nc_u32_e32 v33, 0x1ba, v122
	v_mad_co_u64_u32 v[24:25], null, s19, v43, v[15:16]
	v_lshlrev_b64_e32 v[20:21], 3, v[21:22]
	v_lshlrev_b64_e32 v[22:23], 3, v[29:30]
	s_delay_alu instid0(VALU_DEP_4)
	v_mad_co_u64_u32 v[25:26], null, s18, v33, 0
	v_dual_mov_b32 v28, v41 :: v_dual_add_nc_u32 v129, 0x44, v122
	v_mov_b32_e32 v38, v24
	v_add_nc_u32_e32 v24, 0x20f, v122
	v_add_co_u32 v20, s0, v3, v20
	v_mov_b32_e32 v15, v26
	v_lshlrev_b64_e32 v[27:28], 3, v[27:28]
	v_lshlrev_b64_e32 v[29:30], 3, v[37:38]
	v_mad_co_u64_u32 v[36:37], null, s18, v126, 0
	s_delay_alu instid0(VALU_DEP_4) | instskip(SKIP_4) | instid1(VALU_DEP_4)
	v_mad_co_u64_u32 v[33:34], null, s19, v33, v[15:16]
	v_mad_co_u64_u32 v[34:35], null, s18, v24, 0
	s_wait_alu 0xf1ff
	v_add_co_ci_u32_e64 v21, s0, v14, v21, s0
	v_add_co_u32 v22, s0, v3, v22
	v_dual_mov_b32 v26, v33 :: v_dual_add_nc_u32 v33, 0x77, v122
	s_delay_alu instid0(VALU_DEP_4)
	v_mov_b32_e32 v15, v35
	s_wait_alu 0xf1ff
	v_add_co_ci_u32_e64 v23, s0, v14, v23, s0
	v_add_co_u32 v27, s0, v3, v27
	s_wait_alu 0xf1ff
	v_add_co_ci_u32_e64 v28, s0, v14, v28, s0
	v_mad_co_u64_u32 v[47:48], null, s18, v33, 0
	v_mad_co_u64_u32 v[49:50], null, s19, v24, v[15:16]
	v_mov_b32_e32 v15, v37
	v_add_co_u32 v29, s0, v3, v29
	s_wait_alu 0xf1ff
	v_add_co_ci_u32_e64 v30, s0, v14, v30, s0
	s_clause 0x3
	global_load_b64 v[43:44], v[20:21], off
	global_load_b64 v[41:42], v[22:23], off
	;; [unrolled: 1-line block ×4, first 2 shown]
	v_mad_co_u64_u32 v[23:24], null, s19, v126, v[15:16]
	v_mov_b32_e32 v22, v48
	v_add_nc_u32_e32 v30, 0xcc, v122
	v_lshlrev_b64_e32 v[20:21], 3, v[25:26]
	v_dual_mov_b32 v35, v49 :: v_dual_add_nc_u32 v38, 0x121, v122
	s_delay_alu instid0(VALU_DEP_4) | instskip(SKIP_2) | instid1(VALU_DEP_4)
	v_mad_co_u64_u32 v[24:25], null, s19, v33, v[22:23]
	v_mov_b32_e32 v37, v23
	v_mad_co_u64_u32 v[22:23], null, s18, v30, 0
	v_lshlrev_b64_e32 v[25:26], 3, v[34:35]
	v_add_co_u32 v20, s0, v3, v20
	v_mov_b32_e32 v48, v24
	s_wait_alu 0xf1ff
	v_add_co_ci_u32_e64 v21, s0, v14, v21, s0
	v_mov_b32_e32 v15, v23
	v_add_co_u32 v24, s0, v3, v25
	v_lshlrev_b64_e32 v[28:29], 3, v[47:48]
	v_add_nc_u32_e32 v47, 0x176, v122
	s_wait_alu 0xf1ff
	v_add_co_ci_u32_e64 v25, s0, v14, v26, s0
	v_lshlrev_b64_e32 v[26:27], 3, v[36:37]
	v_mad_co_u64_u32 v[35:36], null, s19, v30, v[15:16]
	v_mad_co_u64_u32 v[33:34], null, s18, v38, 0
	;; [unrolled: 1-line block ×3, first 2 shown]
	s_delay_alu instid0(VALU_DEP_4) | instskip(SKIP_2) | instid1(VALU_DEP_4)
	v_add_co_u32 v26, s0, v3, v26
	s_wait_alu 0xf1ff
	v_add_co_ci_u32_e64 v27, s0, v14, v27, s0
	v_mov_b32_e32 v15, v34
	s_delay_alu instid0(VALU_DEP_4) | instskip(SKIP_1) | instid1(VALU_DEP_3)
	v_dual_mov_b32 v23, v35 :: v_dual_mov_b32 v30, v37
	v_add_co_u32 v28, s0, v3, v28
	v_mad_co_u64_u32 v[34:35], null, s19, v38, v[15:16]
	s_wait_alu 0xf1ff
	v_add_co_ci_u32_e64 v29, s0, v14, v29, s0
	s_clause 0x3
	global_load_b64 v[64:65], v[20:21], off
	global_load_b64 v[68:69], v[24:25], off
	;; [unrolled: 1-line block ×4, first 2 shown]
	v_lshlrev_b64_e32 v[20:21], 3, v[22:23]
	v_or_b32_e32 v35, 0x220, v122
	v_lshlrev_b64_e32 v[24:25], 3, v[33:34]
	v_mad_co_u64_u32 v[33:34], null, s18, v127, 0
	s_delay_alu instid0(VALU_DEP_4) | instskip(SKIP_2) | instid1(VALU_DEP_4)
	v_add_co_u32 v20, s0, v3, v20
	s_wait_alu 0xf1ff
	v_add_co_ci_u32_e64 v21, s0, v14, v21, s0
	v_add_co_u32 v24, s0, v3, v24
	s_wait_alu 0xf1ff
	v_add_co_ci_u32_e64 v25, s0, v14, v25, s0
	s_wait_loadcnt 0xa
	v_mad_co_u64_u32 v[37:38], null, s19, v47, v[30:31]
	v_add_nc_u32_e32 v30, 0x1cb, v122
	v_add_nc_u32_e32 v47, 0xdd, v122
	s_delay_alu instid0(VALU_DEP_2) | instskip(NEXT) | instid1(VALU_DEP_4)
	v_mad_co_u64_u32 v[22:23], null, s18, v30, 0
	v_lshlrev_b64_e32 v[26:27], 3, v[36:37]
	s_delay_alu instid0(VALU_DEP_3) | instskip(NEXT) | instid1(VALU_DEP_3)
	v_mad_co_u64_u32 v[37:38], null, s18, v47, 0
	v_mov_b32_e32 v15, v23
	s_delay_alu instid0(VALU_DEP_3) | instskip(SKIP_1) | instid1(VALU_DEP_4)
	v_add_co_u32 v26, s0, v3, v26
	s_wait_alu 0xf1ff
	v_add_co_ci_u32_e64 v27, s0, v14, v27, s0
	s_delay_alu instid0(VALU_DEP_3) | instskip(SKIP_1) | instid1(VALU_DEP_2)
	v_mad_co_u64_u32 v[28:29], null, s19, v30, v[15:16]
	v_mad_co_u64_u32 v[29:30], null, s18, v35, 0
	v_dual_mov_b32 v23, v28 :: v_dual_mov_b32 v28, v34
	s_delay_alu instid0(VALU_DEP_2) | instskip(NEXT) | instid1(VALU_DEP_2)
	v_mov_b32_e32 v15, v30
	v_lshlrev_b64_e32 v[22:23], 3, v[22:23]
	s_delay_alu instid0(VALU_DEP_2) | instskip(NEXT) | instid1(VALU_DEP_4)
	v_mad_co_u64_u32 v[34:35], null, s19, v35, v[15:16]
	v_mad_co_u64_u32 v[35:36], null, s19, v127, v[28:29]
	v_add_nc_u32_e32 v28, 0x88, v122
	s_delay_alu instid0(VALU_DEP_4)
	v_add_co_u32 v22, s0, v3, v22
	s_wait_alu 0xf1ff
	v_add_co_ci_u32_e64 v23, s0, v14, v23, s0
	v_mov_b32_e32 v30, v34
	v_mov_b32_e32 v34, v35
	v_mad_co_u64_u32 v[35:36], null, s18, v28, 0
	s_clause 0x3
	global_load_b64 v[66:67], v[20:21], off
	global_load_b64 v[76:77], v[24:25], off
	;; [unrolled: 1-line block ×4, first 2 shown]
	v_mov_b32_e32 v24, v38
	v_lshlrev_b64_e32 v[20:21], 3, v[29:30]
	v_add_nc_u32_e32 v30, 0x132, v122
	v_lshlrev_b64_e32 v[22:23], 3, v[33:34]
	v_mov_b32_e32 v15, v36
	s_delay_alu instid0(VALU_DEP_4) | instskip(SKIP_2) | instid1(VALU_DEP_3)
	v_add_co_u32 v20, s0, v3, v20
	s_wait_alu 0xf1ff
	v_add_co_ci_u32_e64 v21, s0, v14, v21, s0
	v_mad_co_u64_u32 v[25:26], null, s19, v28, v[15:16]
	v_add_co_u32 v22, s0, v3, v22
	s_wait_alu 0xf1ff
	v_add_co_ci_u32_e64 v23, s0, v14, v23, s0
	s_delay_alu instid0(VALU_DEP_3) | instskip(SKIP_2) | instid1(VALU_DEP_3)
	v_mad_co_u64_u32 v[26:27], null, s19, v47, v[24:25]
	v_mad_co_u64_u32 v[27:28], null, s18, v30, 0
	v_dual_mov_b32 v36, v25 :: v_dual_add_nc_u32 v47, 0x1ed, v122
	v_mov_b32_e32 v38, v26
	s_delay_alu instid0(VALU_DEP_3) | instskip(NEXT) | instid1(VALU_DEP_3)
	v_dual_mov_b32 v15, v28 :: v_dual_add_nc_u32 v26, 0x187, v122
	v_lshlrev_b64_e32 v[24:25], 3, v[35:36]
	s_delay_alu instid0(VALU_DEP_3) | instskip(SKIP_1) | instid1(VALU_DEP_4)
	v_lshlrev_b64_e32 v[28:29], 3, v[37:38]
	v_add_nc_u32_e32 v38, 0x1dc, v122
	v_mad_co_u64_u32 v[33:34], null, s19, v30, v[15:16]
	v_mad_co_u64_u32 v[34:35], null, s18, v26, 0
	v_add_co_u32 v24, s0, v3, v24
	s_wait_alu 0xf1ff
	v_add_co_ci_u32_e64 v25, s0, v14, v25, s0
	v_add_co_u32 v36, s0, v3, v28
	s_delay_alu instid0(VALU_DEP_4)
	v_mov_b32_e32 v15, v35
	s_wait_alu 0xf1ff
	v_add_co_ci_u32_e64 v37, s0, v14, v29, s0
	v_mad_co_u64_u32 v[29:30], null, s18, v38, 0
	v_mov_b32_e32 v28, v33
	v_mad_co_u64_u32 v[50:51], null, s19, v26, v[15:16]
	v_add_nc_u32_e32 v33, 0x231, v122
	s_clause 0x3
	global_load_b64 v[92:93], v[20:21], off
	global_load_b64 v[78:79], v[22:23], off
	;; [unrolled: 1-line block ×4, first 2 shown]
	v_lshlrev_b64_e32 v[20:21], 3, v[27:28]
	v_mov_b32_e32 v15, v30
	v_mad_co_u64_u32 v[27:28], null, s18, v129, 0
	v_mad_co_u64_u32 v[22:23], null, s18, v33, 0
	v_mov_b32_e32 v35, v50
	s_delay_alu instid0(VALU_DEP_4) | instskip(SKIP_1) | instid1(VALU_DEP_3)
	v_mad_co_u64_u32 v[24:25], null, s19, v38, v[15:16]
	v_add_co_u32 v20, s0, v3, v20
	v_lshlrev_b64_e32 v[25:26], 3, v[34:35]
	v_mov_b32_e32 v15, v23
	s_wait_alu 0xf1ff
	v_add_co_ci_u32_e64 v21, s0, v14, v21, s0
	v_dual_mov_b32 v30, v24 :: v_dual_add_nc_u32 v37, 0xee, v122
	s_delay_alu instid0(VALU_DEP_3)
	v_mad_co_u64_u32 v[23:24], null, s19, v33, v[15:16]
	v_add_co_u32 v24, s0, v3, v25
	s_wait_alu 0xf1ff
	v_add_co_ci_u32_e64 v25, s0, v14, v26, s0
	v_dual_mov_b32 v15, v28 :: v_dual_add_nc_u32 v26, 0x99, v122
	v_lshlrev_b64_e32 v[29:30], 3, v[29:30]
	v_lshlrev_b64_e32 v[22:23], 3, v[22:23]
	v_add_nc_u32_e32 v38, 0x198, v122
	s_delay_alu instid0(VALU_DEP_4) | instskip(SKIP_4) | instid1(VALU_DEP_4)
	v_mad_co_u64_u32 v[33:34], null, s18, v26, 0
	v_mad_co_u64_u32 v[35:36], null, s19, v129, v[15:16]
	v_add_co_u32 v29, s0, v3, v29
	s_wait_alu 0xf1ff
	v_add_co_ci_u32_e64 v30, s0, v14, v30, s0
	v_mov_b32_e32 v15, v34
	v_add_co_u32 v22, s0, v3, v22
	v_mov_b32_e32 v28, v35
	s_wait_alu 0xf1ff
	v_add_co_ci_u32_e64 v23, s0, v14, v23, s0
	v_mad_co_u64_u32 v[34:35], null, s19, v26, v[15:16]
	v_mad_co_u64_u32 v[35:36], null, s18, v37, 0
	s_clause 0x3
	global_load_b64 v[94:95], v[20:21], off
	global_load_b64 v[90:91], v[24:25], off
	;; [unrolled: 1-line block ×4, first 2 shown]
	v_add_nc_u32_e32 v29, 0x143, v122
	v_lshlrev_b64_e32 v[20:21], 3, v[27:28]
	v_lshlrev_b64_e32 v[27:28], 3, v[33:34]
	v_mov_b32_e32 v15, v36
	s_delay_alu instid0(VALU_DEP_4) | instskip(NEXT) | instid1(VALU_DEP_4)
	v_mad_co_u64_u32 v[22:23], null, s18, v29, 0
	v_add_co_u32 v20, s0, v3, v20
	s_delay_alu instid0(VALU_DEP_3) | instskip(SKIP_1) | instid1(VALU_DEP_4)
	v_mad_co_u64_u32 v[24:25], null, s19, v37, v[15:16]
	v_mad_co_u64_u32 v[25:26], null, s18, v38, 0
	v_mov_b32_e32 v15, v23
	s_wait_alu 0xf1ff
	v_add_co_ci_u32_e64 v21, s0, v14, v21, s0
	v_add_co_u32 v27, s0, v3, v27
	v_mov_b32_e32 v36, v24
	v_mad_co_u64_u32 v[23:24], null, s19, v29, v[15:16]
	v_dual_mov_b32 v15, v26 :: v_dual_add_nc_u32 v24, 0x242, v122
	v_mad_co_u64_u32 v[29:30], null, s18, v47, 0
	s_wait_alu 0xf1ff
	v_add_co_ci_u32_e64 v28, s0, v14, v28, s0
	s_delay_alu instid0(VALU_DEP_3) | instskip(SKIP_1) | instid1(VALU_DEP_4)
	v_mad_co_u64_u32 v[33:34], null, s19, v38, v[15:16]
	v_mad_co_u64_u32 v[37:38], null, s18, v24, 0
	v_mov_b32_e32 v15, v30
	v_lshlrev_b64_e32 v[34:35], 3, v[35:36]
	v_lshlrev_b64_e32 v[22:23], 3, v[22:23]
	v_mov_b32_e32 v26, v33
	s_delay_alu instid0(VALU_DEP_4) | instskip(SKIP_4) | instid1(VALU_DEP_3)
	v_mad_co_u64_u32 v[50:51], null, s19, v47, v[15:16]
	v_mov_b32_e32 v15, v38
	v_add_co_u32 v33, s0, v3, v34
	s_wait_alu 0xf1ff
	v_add_co_ci_u32_e64 v34, s0, v14, v35, s0
	v_mad_co_u64_u32 v[35:36], null, s19, v24, v[15:16]
	v_mov_b32_e32 v30, v50
	v_lshlrev_b64_e32 v[24:25], 3, v[25:26]
	v_add_co_u32 v22, s0, v3, v22
	s_wait_alu 0xf1ff
	v_add_co_ci_u32_e64 v23, s0, v14, v23, s0
	v_mov_b32_e32 v38, v35
	v_lshlrev_b64_e32 v[29:30], 3, v[29:30]
	v_add_co_u32 v24, s0, v3, v24
	s_wait_alu 0xf1ff
	v_add_co_ci_u32_e64 v25, s0, v14, v25, s0
	v_lshlrev_b64_e32 v[35:36], 3, v[37:38]
	s_delay_alu instid0(VALU_DEP_4) | instskip(SKIP_2) | instid1(VALU_DEP_3)
	v_add_co_u32 v29, s0, v3, v29
	s_wait_alu 0xf1ff
	v_add_co_ci_u32_e64 v30, s0, v14, v30, s0
	v_add_co_u32 v35, s0, v3, v35
	s_wait_alu 0xf1ff
	v_add_co_ci_u32_e64 v36, s0, v14, v36, s0
	s_clause 0x6
	global_load_b64 v[100:101], v[20:21], off
	global_load_b64 v[108:109], v[27:28], off
	;; [unrolled: 1-line block ×7, first 2 shown]
.LBB0_12:
	s_or_b32 exec_lo, exec_lo, s1
	s_wait_loadcnt 0x1c
	v_dual_add_f32 v14, v39, v4 :: v_dual_sub_f32 v23, v13, v1
	v_add_f32_e32 v22, v0, v12
	v_add_f32_e32 v15, v31, v8
	v_sub_f32_e32 v20, v5, v40
	v_sub_f32_e32 v21, v9, v32
	v_mul_hi_u32 v3, 0xaaaaaaab, v2
	s_wait_loadcnt 0x9
	v_sub_f32_e32 v37, v91, v95
	v_dual_add_f32 v24, v14, v15 :: v_dual_sub_f32 v25, v15, v14
	v_sub_f32_e32 v14, v14, v22
	v_sub_f32_e32 v15, v22, v15
	v_add_f32_e32 v26, v21, v23
	s_delay_alu instid0(VALU_DEP_4) | instskip(SKIP_4) | instid1(VALU_DEP_3)
	v_add_f32_e32 v22, v24, v22
	v_dual_sub_f32 v24, v23, v21 :: v_dual_sub_f32 v23, v20, v23
	v_sub_f32_e32 v21, v21, v20
	v_lshrrev_b32_e32 v3, 1, v3
	s_wait_loadcnt 0x7
	v_dual_sub_f32 v47, v87, v99 :: v_dual_mul_f32 v24, 0x3f08b237, v24
	v_cmp_eq_u32_e64 s0, 0, v122
	v_dual_mul_f32 v27, 0xbf5ff5aa, v21 :: v_dual_add_f32 v20, v20, v26
	v_add_f32_e32 v26, v22, v6
	v_mul_f32_e32 v6, 0x3d64c772, v15
	v_mul_f32_e32 v15, 0x3f4a47b2, v14
	v_lshl_add_u32 v3, v3, 1, v3
                                        ; implicit-def: $vgpr146
	v_add_f32_e32 v36, v76, v70
	s_delay_alu instid0(VALU_DEP_4)
	v_fmamk_f32 v14, v14, 0x3f4a47b2, v6
	v_fma_f32 v6, 0x3f3bfb3b, v25, -v6
	v_fma_f32 v15, 0xbf3bfb3b, v25, -v15
	v_fmamk_f32 v25, v23, 0xbeae86e6, v24
	v_fma_f32 v23, 0x3eae86e6, v23, -v27
	v_sub_nc_u32_e32 v2, v2, v3
	s_delay_alu instid0(VALU_DEP_3) | instskip(NEXT) | instid1(VALU_DEP_3)
	v_fmac_f32_e32 v25, 0xbee1c552, v20
	v_fmac_f32_e32 v23, 0xbee1c552, v20
	v_fmamk_f32 v22, v22, 0xbf955555, v26
	s_delay_alu instid0(VALU_DEP_4) | instskip(NEXT) | instid1(VALU_DEP_2)
	v_mul_u32_u24_e32 v2, 0x253, v2
	v_add_f32_e32 v14, v14, v22
	v_add_f32_e32 v15, v15, v22
	s_delay_alu instid0(VALU_DEP_2) | instskip(SKIP_1) | instid1(VALU_DEP_2)
	v_dual_add_f32 v3, v14, v25 :: v_dual_lshlrev_b32 v128, 2, v2
	v_fma_f32 v21, 0xbf5ff5aa, v21, -v24
	v_add_nc_u32_e32 v131, 0, v128
	s_delay_alu instid0(VALU_DEP_2) | instskip(SKIP_4) | instid1(VALU_DEP_4)
	v_dual_fmac_f32 v21, 0xbee1c552, v20 :: v_dual_add_f32 v20, v15, v23
	v_dual_sub_f32 v15, v15, v23 :: v_dual_add_f32 v6, v6, v22
	v_add_f32_e32 v23, v64, v41
	v_sub_f32_e32 v14, v14, v25
	v_add_f32_e32 v25, v52, v45
	v_sub_f32_e32 v22, v6, v21
	v_dual_add_f32 v21, v6, v21 :: v_dual_add_f32 v6, v68, v43
	v_sub_f32_e32 v24, v44, v69
	s_delay_alu instid0(VALU_DEP_2) | instskip(SKIP_3) | instid1(VALU_DEP_3)
	v_dual_sub_f32 v27, v42, v65 :: v_dual_sub_f32 v30, v23, v6
	v_add_f32_e32 v29, v6, v23
	v_sub_f32_e32 v28, v46, v53
	v_dual_sub_f32 v6, v6, v25 :: v_dual_sub_f32 v23, v25, v23
	v_add_f32_e32 v25, v29, v25
	s_delay_alu instid0(VALU_DEP_3) | instskip(SKIP_4) | instid1(VALU_DEP_4)
	v_sub_f32_e32 v29, v28, v27
	v_add_f32_e32 v33, v27, v28
	v_sub_f32_e32 v27, v27, v24
	v_sub_f32_e32 v28, v24, v28
	v_dual_add_f32 v34, v25, v10 :: v_dual_mul_f32 v23, 0x3d64c772, v23
	v_add_f32_e32 v24, v24, v33
	v_mul_f32_e32 v29, 0x3f08b237, v29
	v_mul_f32_e32 v33, 0x3f4a47b2, v6
	s_delay_alu instid0(VALU_DEP_4)
	v_fmamk_f32 v25, v25, 0xbf955555, v34
	v_fmamk_f32 v6, v6, 0x3f4a47b2, v23
	v_fma_f32 v10, 0x3f3bfb3b, v30, -v23
	v_mul_f32_e32 v23, 0xbf5ff5aa, v27
	v_fma_f32 v27, 0xbf5ff5aa, v27, -v29
	v_fmamk_f32 v29, v28, 0xbeae86e6, v29
	v_fma_f32 v30, 0xbf3bfb3b, v30, -v33
	s_delay_alu instid0(VALU_DEP_2) | instskip(NEXT) | instid1(VALU_DEP_4)
	v_dual_add_f32 v10, v10, v25 :: v_dual_fmac_f32 v29, 0xbee1c552, v24
	v_fmac_f32_e32 v27, 0xbee1c552, v24
	s_delay_alu instid0(VALU_DEP_1)
	v_sub_f32_e32 v2, v10, v27
	v_add_f32_e32 v6, v6, v25
	v_fma_f32 v23, 0x3eae86e6, v28, -v23
	v_add_f32_e32 v25, v30, v25
	v_sub_f32_e32 v30, v55, v93
	v_sub_f32_e32 v35, v67, v81
	s_delay_alu instid0(VALU_DEP_4) | instskip(SKIP_1) | instid1(VALU_DEP_2)
	v_dual_sub_f32 v28, v6, v29 :: v_dual_fmac_f32 v23, 0xbee1c552, v24
	v_add_f32_e32 v24, v10, v27
	v_add_f32_e32 v27, v25, v23
	v_sub_f32_e32 v23, v25, v23
	v_add_f32_e32 v25, v6, v29
	v_mad_u32_u24 v6, v122, 28, v131
	ds_store_2addr_b32 v6, v26, v3 offset1:1
	ds_store_2addr_b32 v6, v20, v22 offset0:2 offset1:3
	ds_store_2addr_b32 v6, v21, v15 offset0:4 offset1:5
	ds_store_b32 v6, v14 offset:24
	v_sub_f32_e32 v14, v71, v77
	v_mad_i32_i24 v10, v123, 28, v131
	v_mad_i32_i24 v132, v126, 28, v131
	;; [unrolled: 1-line block ×3, first 2 shown]
	v_lshl_add_u32 v125, v123, 2, v131
	v_add_f32_e32 v22, v35, v14
	s_delay_alu instid0(VALU_DEP_1) | instskip(SKIP_2) | instid1(VALU_DEP_2)
	v_add_f32_e32 v22, v30, v22
	v_dual_add_f32 v29, v92, v54 :: v_dual_sub_f32 v26, v14, v35
	v_sub_f32_e32 v14, v30, v14
	v_dual_sub_f32 v20, v29, v36 :: v_dual_add_f32 v33, v80, v66
	s_delay_alu instid0(VALU_DEP_3)
	v_mul_f32_e32 v26, 0x3f08b237, v26
	ds_store_2addr_b32 v10, v34, v25 offset1:1
	ds_store_2addr_b32 v10, v27, v2 offset0:2 offset1:3
	ds_store_2addr_b32 v10, v24, v23 offset0:4 offset1:5
	ds_store_b32 v10, v28 offset:24
	s_wait_loadcnt 0x1
	v_add_f32_e32 v28, v114, v106
	s_wait_loadcnt 0x0
	v_dual_add_f32 v2, v116, v108 :: v_dual_add_f32 v3, v29, v33
	v_sub_f32_e32 v15, v33, v29
	v_dual_sub_f32 v29, v35, v30 :: v_dual_mul_f32 v30, 0x3f4a47b2, v20
	v_sub_f32_e32 v21, v36, v33
	s_delay_alu instid0(VALU_DEP_2) | instskip(SKIP_1) | instid1(VALU_DEP_3)
	v_mul_f32_e32 v35, 0xbf5ff5aa, v29
	v_fma_f32 v29, 0xbf5ff5aa, v29, -v26
	v_mul_f32_e32 v21, 0x3d64c772, v21
	s_delay_alu instid0(VALU_DEP_1)
	v_fmamk_f32 v20, v20, 0x3f4a47b2, v21
	v_fma_f32 v21, 0x3f3bfb3b, v15, -v21
	v_fma_f32 v15, 0xbf3bfb3b, v15, -v30
	;; [unrolled: 1-line block ×3, first 2 shown]
	v_dual_add_f32 v3, v3, v36 :: v_dual_fmamk_f32 v14, v14, 0xbeae86e6, v26
	v_sub_f32_e32 v35, v85, v97
	v_fmac_f32_e32 v29, 0xbee1c552, v22
	s_delay_alu instid0(VALU_DEP_3) | instskip(NEXT) | instid1(VALU_DEP_4)
	v_dual_fmac_f32 v30, 0xbee1c552, v22 :: v_dual_add_f32 v33, v3, v48
	v_fmac_f32_e32 v14, 0xbee1c552, v22
	s_delay_alu instid0(VALU_DEP_2) | instskip(NEXT) | instid1(VALU_DEP_1)
	v_dual_sub_f32 v48, v37, v35 :: v_dual_fmamk_f32 v3, v3, 0xbf955555, v33
	v_dual_mul_f32 v48, 0x3f08b237, v48 :: v_dual_add_f32 v15, v15, v3
	s_delay_alu instid0(VALU_DEP_1) | instskip(SKIP_2) | instid1(VALU_DEP_1)
	v_dual_add_f32 v21, v21, v3 :: v_dual_add_f32 v22, v15, v30
	v_dual_sub_f32 v15, v15, v30 :: v_dual_add_f32 v30, v96, v84
	v_add_f32_e32 v3, v20, v3
	v_add_f32_e32 v26, v3, v14
	v_sub_f32_e32 v3, v3, v14
	v_add_f32_e32 v14, v94, v90
	v_sub_f32_e32 v20, v21, v29
	v_add_f32_e32 v21, v21, v29
	v_add_f32_e32 v29, v98, v86
	s_delay_alu instid0(VALU_DEP_1)
	v_add_f32_e32 v36, v29, v30
	v_dual_sub_f32 v38, v30, v29 :: v_dual_sub_f32 v29, v29, v14
	v_sub_f32_e32 v30, v14, v30
	ds_store_2addr_b32 v132, v33, v26 offset1:1
	ds_store_2addr_b32 v132, v22, v20 offset0:2 offset1:3
	ds_store_2addr_b32 v132, v21, v15 offset0:4 offset1:5
	ds_store_b32 v132, v3 offset:24
	v_add_f32_e32 v14, v36, v14
	v_dual_add_f32 v3, v112, v110 :: v_dual_add_f32 v20, v2, v28
	v_mul_f32_e32 v30, 0x3d64c772, v30
	v_add_f32_e32 v36, v35, v37
	s_delay_alu instid0(VALU_DEP_4)
	v_add_f32_e32 v50, v14, v78
	v_sub_f32_e32 v22, v28, v2
	v_sub_f32_e32 v28, v3, v28
	;; [unrolled: 1-line block ×3, first 2 shown]
	v_add_f32_e32 v36, v47, v36
	v_dual_fmamk_f32 v14, v14, 0xbf955555, v50 :: v_dual_sub_f32 v37, v47, v37
	v_sub_f32_e32 v35, v35, v47
	v_mul_f32_e32 v47, 0x3f4a47b2, v29
	v_fmamk_f32 v29, v29, 0x3f4a47b2, v30
	v_fma_f32 v30, 0x3f3bfb3b, v38, -v30
	v_dual_sub_f32 v15, v107, v115 :: v_dual_mul_f32 v28, 0x3d64c772, v28
	s_delay_alu instid0(VALU_DEP_4) | instskip(NEXT) | instid1(VALU_DEP_4)
	v_fma_f32 v38, 0xbf3bfb3b, v38, -v47
	v_add_f32_e32 v29, v29, v14
	s_delay_alu instid0(VALU_DEP_4) | instskip(SKIP_1) | instid1(VALU_DEP_4)
	v_dual_add_f32 v30, v30, v14 :: v_dual_fmamk_f32 v47, v37, 0xbeae86e6, v48
	v_sub_f32_e32 v2, v2, v3
	v_dual_add_f32 v14, v38, v14 :: v_dual_mul_f32 v51, 0xbf5ff5aa, v35
	v_fma_f32 v35, 0xbf5ff5aa, v35, -v48
	s_delay_alu instid0(VALU_DEP_4) | instskip(SKIP_4) | instid1(VALU_DEP_4)
	v_fmac_f32_e32 v47, 0xbee1c552, v36
	v_sub_f32_e32 v21, v111, v113
	v_add_f32_e32 v3, v20, v3
	v_fma_f32 v37, 0x3eae86e6, v37, -v51
	v_fmac_f32_e32 v35, 0xbee1c552, v36
	v_dual_add_f32 v23, v29, v47 :: v_dual_add_f32 v20, v15, v21
	v_mad_i32_i24 v78, v127, 28, v131
	s_delay_alu instid0(VALU_DEP_4) | instskip(NEXT) | instid1(VALU_DEP_4)
	v_fmac_f32_e32 v37, 0xbee1c552, v36
	v_add_f32_e32 v25, v30, v35
	v_sub_f32_e32 v24, v30, v35
	v_add_f32_e32 v20, v26, v20
	s_delay_alu instid0(VALU_DEP_4) | instskip(SKIP_3) | instid1(VALU_DEP_3)
	v_dual_sub_f32 v30, v21, v15 :: v_dual_add_f32 v27, v14, v37
	v_sub_f32_e32 v21, v26, v21
	v_sub_f32_e32 v14, v14, v37
	s_load_b64 s[2:3], s[2:3], 0x0
	v_mul_f32_e32 v30, 0x3f08b237, v30
	v_sub_f32_e32 v15, v15, v26
	v_mul_f32_e32 v26, 0x3f4a47b2, v2
	v_fmamk_f32 v2, v2, 0x3f4a47b2, v28
	v_fma_f32 v28, 0x3f3bfb3b, v22, -v28
                                        ; implicit-def: $vgpr35
                                        ; implicit-def: $vgpr38
	s_delay_alu instid0(VALU_DEP_3) | instskip(SKIP_3) | instid1(VALU_DEP_3)
	v_fma_f32 v22, 0xbf3bfb3b, v22, -v26
	v_dual_fmamk_f32 v26, v21, 0xbeae86e6, v30 :: v_dual_add_f32 v33, v3, v100
	v_mul_f32_e32 v34, 0xbf5ff5aa, v15
	v_fma_f32 v15, 0xbf5ff5aa, v15, -v30
	v_fmamk_f32 v3, v3, 0xbf955555, v33
	s_delay_alu instid0(VALU_DEP_3) | instskip(NEXT) | instid1(VALU_DEP_3)
	v_fma_f32 v21, 0x3eae86e6, v21, -v34
	v_fmac_f32_e32 v15, 0xbee1c552, v20
	v_fmac_f32_e32 v26, 0xbee1c552, v20
	s_delay_alu instid0(VALU_DEP_3)
	v_dual_fmac_f32 v21, 0xbee1c552, v20 :: v_dual_sub_f32 v20, v29, v47
	v_add_f32_e32 v2, v2, v3
	v_add_f32_e32 v28, v28, v3
	;; [unrolled: 1-line block ×3, first 2 shown]
	ds_store_2addr_b32 v78, v50, v23 offset1:1
	ds_store_2addr_b32 v78, v27, v24 offset0:2 offset1:3
	ds_store_2addr_b32 v78, v25, v14 offset0:4 offset1:5
	ds_store_b32 v78, v20 offset:24
	v_lshlrev_b32_e32 v20, 2, v122
                                        ; implicit-def: $vgpr27
                                        ; implicit-def: $vgpr25
                                        ; implicit-def: $vgpr24
	v_add_f32_e32 v29, v3, v21
	v_sub_f32_e32 v3, v3, v21
	s_delay_alu instid0(VALU_DEP_3) | instskip(SKIP_3) | instid1(VALU_DEP_4)
	v_add3_u32 v124, 0, v20, v128
	v_sub_f32_e32 v30, v28, v15
	v_dual_add_f32 v15, v28, v15 :: v_dual_add_f32 v22, v2, v26
	v_add_nc_u32_e32 v100, v131, v20
	v_dual_sub_f32 v2, v2, v26 :: v_dual_add_nc_u32 v135, 0x400, v124
	ds_store_2addr_b32 v133, v33, v22 offset1:1
	ds_store_2addr_b32 v133, v29, v30 offset0:2 offset1:3
	ds_store_2addr_b32 v133, v15, v3 offset0:4 offset1:5
	ds_store_b32 v133, v2 offset:24
	global_wb scope:SCOPE_SE
	s_wait_dscnt 0x0
	s_wait_kmcnt 0x0
	s_barrier_signal -1
	s_barrier_wait -1
	global_inv scope:SCOPE_SE
	v_add_nc_u32_e32 v136, 0x200, v124
	v_add_nc_u32_e32 v134, 0x800, v124
	ds_load_b32 v145, v100
	ds_load_b32 v130, v125
	ds_load_2addr_b32 v[120:121], v124 offset0:35 offset1:52
	ds_load_2addr_b32 v[118:119], v124 offset0:70 offset1:87
	;; [unrolled: 1-line block ×16, first 2 shown]
                                        ; implicit-def: $vgpr33
                                        ; implicit-def: $vgpr30
	s_and_saveexec_b32 s1, s0
	s_cbranch_execz .LBB0_14
; %bb.13:
	v_add_nc_u32_e32 v23, 0x200, v131
	v_add_nc_u32_e32 v24, 0x400, v131
	;; [unrolled: 1-line block ×3, first 2 shown]
	ds_load_2addr_b32 v[2:3], v131 offset0:34 offset1:69
	ds_load_2addr_b32 v[27:28], v131 offset0:104 offset1:139
	;; [unrolled: 1-line block ×8, first 2 shown]
	ds_load_b32 v146, v131 offset:2376
.LBB0_14:
	s_wait_alu 0xfffe
	s_or_b32 exec_lo, exec_lo, s1
	v_add_f32_e32 v5, v40, v5
	v_add_f32_e32 v9, v32, v9
	v_dual_sub_f32 v4, v4, v39 :: v_dual_add_f32 v1, v1, v13
	v_sub_f32_e32 v8, v8, v31
	s_delay_alu instid0(VALU_DEP_3) | instskip(SKIP_1) | instid1(VALU_DEP_4)
	v_dual_sub_f32 v0, v12, v0 :: v_dual_sub_f32 v13, v9, v5
	v_add_f32_e32 v12, v5, v9
	v_sub_f32_e32 v5, v5, v1
	v_sub_f32_e32 v9, v1, v9
	s_delay_alu instid0(VALU_DEP_4)
	v_add_f32_e32 v31, v8, v0
	v_sub_f32_e32 v41, v41, v64
	v_add_f32_e32 v1, v12, v1
	v_sub_f32_e32 v12, v0, v8
	v_dual_sub_f32 v8, v8, v4 :: v_dual_mul_f32 v9, 0x3d64c772, v9
	v_sub_f32_e32 v0, v4, v0
	v_dual_add_f32 v4, v4, v31 :: v_dual_mul_f32 v31, 0x3f4a47b2, v5
	s_delay_alu instid0(VALU_DEP_4) | instskip(NEXT) | instid1(VALU_DEP_4)
	v_mul_f32_e32 v12, 0x3f08b237, v12
	v_mul_f32_e32 v32, 0xbf5ff5aa, v8
	v_add_f32_e32 v40, v53, v46
	v_fmamk_f32 v5, v5, 0x3f4a47b2, v9
	v_fma_f32 v9, 0x3f3bfb3b, v13, -v9
	v_fma_f32 v13, 0xbf3bfb3b, v13, -v31
	v_fmamk_f32 v31, v0, 0xbeae86e6, v12
	v_fma_f32 v0, 0x3eae86e6, v0, -v32
	v_fma_f32 v8, 0xbf5ff5aa, v8, -v12
	v_dual_add_f32 v32, v65, v42 :: v_dual_sub_f32 v39, v43, v68
	v_sub_f32_e32 v42, v45, v52
	s_delay_alu instid0(VALU_DEP_4)
	v_dual_fmac_f32 v0, 0xbee1c552, v4 :: v_dual_add_f32 v7, v1, v7
	v_sub_f32_e32 v53, v70, v76
	global_wb scope:SCOPE_SE
	s_wait_dscnt 0x0
	v_fmac_f32_e32 v8, 0xbee1c552, v4
	s_barrier_signal -1
	v_fmamk_f32 v1, v1, 0xbf955555, v7
	s_barrier_wait -1
	global_inv scope:SCOPE_SE
                                        ; implicit-def: $vgpr147
	v_sub_f32_e32 v52, v66, v80
	v_dual_sub_f32 v66, v84, v96 :: v_dual_add_f32 v5, v5, v1
	v_add_f32_e32 v9, v9, v1
	v_add_f32_e32 v1, v13, v1
	s_delay_alu instid0(VALU_DEP_4) | instskip(NEXT) | instid1(VALU_DEP_3)
	v_add_f32_e32 v64, v52, v53
	v_dual_add_f32 v13, v8, v9 :: v_dual_sub_f32 v8, v9, v8
	v_add_f32_e32 v9, v69, v44
	s_delay_alu instid0(VALU_DEP_1) | instskip(SKIP_2) | instid1(VALU_DEP_3)
	v_dual_add_f32 v43, v9, v32 :: v_dual_sub_f32 v44, v32, v9
	v_sub_f32_e32 v9, v9, v40
	v_sub_f32_e32 v32, v40, v32
	v_add_f32_e32 v40, v43, v40
	s_delay_alu instid0(VALU_DEP_1) | instskip(NEXT) | instid1(VALU_DEP_1)
	v_dual_mul_f32 v32, 0x3d64c772, v32 :: v_dual_add_f32 v11, v40, v11
	v_dual_fmamk_f32 v40, v40, 0xbf955555, v11 :: v_dual_add_f32 v45, v41, v42
	v_dual_sub_f32 v43, v42, v41 :: v_dual_sub_f32 v42, v39, v42
	v_sub_f32_e32 v41, v41, v39
	s_delay_alu instid0(VALU_DEP_3) | instskip(SKIP_1) | instid1(VALU_DEP_4)
	v_dual_sub_f32 v12, v1, v0 :: v_dual_add_f32 v39, v39, v45
	v_mul_f32_e32 v45, 0x3f4a47b2, v9
	v_mul_f32_e32 v43, 0x3f08b237, v43
	v_fmamk_f32 v9, v9, 0x3f4a47b2, v32
	v_fma_f32 v32, 0x3f3bfb3b, v44, -v32
	v_add_f32_e32 v1, v0, v1
	v_fma_f32 v44, 0xbf3bfb3b, v44, -v45
	v_dual_fmamk_f32 v45, v42, 0xbeae86e6, v43 :: v_dual_add_f32 v0, v93, v55
	s_delay_alu instid0(VALU_DEP_4)
	v_add_f32_e32 v32, v32, v40
	v_mul_f32_e32 v46, 0xbf5ff5aa, v41
	v_fma_f32 v41, 0xbf5ff5aa, v41, -v43
	v_add_f32_e32 v9, v9, v40
	v_add_f32_e32 v40, v44, v40
	v_sub_f32_e32 v44, v54, v92
	v_fma_f32 v42, 0x3eae86e6, v42, -v46
	v_fmac_f32_e32 v31, 0xbee1c552, v4
	v_fmac_f32_e32 v41, 0xbee1c552, v39
	v_dual_add_f32 v46, v77, v71 :: v_dual_sub_f32 v77, v106, v114
	s_delay_alu instid0(VALU_DEP_4) | instskip(NEXT) | instid1(VALU_DEP_4)
	v_fmac_f32_e32 v42, 0xbee1c552, v39
	v_sub_f32_e32 v4, v5, v31
	s_delay_alu instid0(VALU_DEP_4) | instskip(SKIP_2) | instid1(VALU_DEP_2)
	v_dual_add_f32 v43, v41, v32 :: v_dual_sub_f32 v32, v32, v41
	v_add_f32_e32 v41, v81, v67
	v_add_f32_e32 v5, v31, v5
	v_dual_sub_f32 v67, v90, v94 :: v_dual_add_f32 v54, v0, v41
	v_fmac_f32_e32 v45, 0xbee1c552, v39
	v_dual_sub_f32 v55, v41, v0 :: v_dual_sub_f32 v0, v0, v46
	v_sub_f32_e32 v41, v46, v41
	s_delay_alu instid0(VALU_DEP_3) | instskip(SKIP_1) | instid1(VALU_DEP_2)
	v_dual_add_f32 v46, v54, v46 :: v_dual_sub_f32 v31, v9, v45
	v_dual_sub_f32 v39, v40, v42 :: v_dual_sub_f32 v54, v53, v52
	v_dual_sub_f32 v52, v52, v44 :: v_dual_add_f32 v49, v46, v49
	s_delay_alu instid0(VALU_DEP_4) | instskip(NEXT) | instid1(VALU_DEP_3)
	v_dual_mul_f32 v41, 0x3d64c772, v41 :: v_dual_add_f32 v40, v42, v40
	v_dual_mul_f32 v54, 0x3f08b237, v54 :: v_dual_add_f32 v9, v45, v9
	s_delay_alu instid0(VALU_DEP_3) | instskip(SKIP_4) | instid1(VALU_DEP_3)
	v_dual_fmamk_f32 v46, v46, 0xbf955555, v49 :: v_dual_sub_f32 v53, v44, v53
	v_add_f32_e32 v44, v44, v64
	v_mul_f32_e32 v64, 0x3f4a47b2, v0
	v_fmamk_f32 v0, v0, 0x3f4a47b2, v41
	v_fma_f32 v41, 0x3f3bfb3b, v55, -v41
	v_fma_f32 v55, 0xbf3bfb3b, v55, -v64
	s_delay_alu instid0(VALU_DEP_3) | instskip(NEXT) | instid1(VALU_DEP_3)
	v_add_f32_e32 v0, v0, v46
	v_add_f32_e32 v41, v41, v46
	s_delay_alu instid0(VALU_DEP_3) | instskip(SKIP_3) | instid1(VALU_DEP_4)
	v_dual_add_f32 v46, v55, v46 :: v_dual_mul_f32 v65, 0xbf5ff5aa, v52
	v_fma_f32 v52, 0xbf5ff5aa, v52, -v54
	v_fmamk_f32 v64, v53, 0xbeae86e6, v54
	v_dual_add_f32 v54, v97, v85 :: v_dual_sub_f32 v55, v86, v98
	v_fma_f32 v53, 0x3eae86e6, v53, -v65
	s_delay_alu instid0(VALU_DEP_4) | instskip(NEXT) | instid1(VALU_DEP_4)
	v_dual_add_f32 v65, v95, v91 :: v_dual_fmac_f32 v52, 0xbee1c552, v44
	v_fmac_f32_e32 v64, 0xbee1c552, v44
	s_delay_alu instid0(VALU_DEP_3) | instskip(NEXT) | instid1(VALU_DEP_3)
	v_fmac_f32_e32 v53, 0xbee1c552, v44
	v_add_f32_e32 v45, v52, v41
	v_dual_sub_f32 v41, v41, v52 :: v_dual_add_f32 v52, v99, v87
	s_delay_alu instid0(VALU_DEP_4) | instskip(NEXT) | instid1(VALU_DEP_4)
	v_sub_f32_e32 v42, v0, v64
	v_sub_f32_e32 v44, v46, v53
	s_delay_alu instid0(VALU_DEP_3) | instskip(SKIP_2) | instid1(VALU_DEP_3)
	v_dual_add_f32 v68, v52, v54 :: v_dual_sub_f32 v69, v54, v52
	v_sub_f32_e32 v52, v52, v65
	v_sub_f32_e32 v54, v65, v54
	v_dual_add_f32 v70, v66, v67 :: v_dual_add_f32 v65, v68, v65
	s_delay_alu instid0(VALU_DEP_3) | instskip(NEXT) | instid1(VALU_DEP_3)
	v_dual_sub_f32 v68, v67, v66 :: v_dual_mul_f32 v71, 0x3f4a47b2, v52
	v_dual_sub_f32 v67, v55, v67 :: v_dual_mul_f32 v54, 0x3d64c772, v54
	s_delay_alu instid0(VALU_DEP_3) | instskip(NEXT) | instid1(VALU_DEP_2)
	v_dual_sub_f32 v66, v66, v55 :: v_dual_add_f32 v55, v55, v70
	v_fmamk_f32 v52, v52, 0x3f4a47b2, v54
	v_fma_f32 v54, 0x3f3bfb3b, v69, -v54
	v_fma_f32 v69, 0xbf3bfb3b, v69, -v71
	v_mul_f32_e32 v68, 0x3f08b237, v68
	v_add_f32_e32 v70, v65, v79
	v_dual_mul_f32 v76, 0xbf5ff5aa, v66 :: v_dual_sub_f32 v79, v110, v112
	s_delay_alu instid0(VALU_DEP_3) | instskip(NEXT) | instid1(VALU_DEP_3)
	v_fmamk_f32 v71, v67, 0xbeae86e6, v68
	v_fmamk_f32 v65, v65, 0xbf955555, v70
	s_delay_alu instid0(VALU_DEP_3) | instskip(NEXT) | instid1(VALU_DEP_2)
	v_add_f32_e32 v84, v77, v79
	v_dual_fmac_f32 v71, 0xbee1c552, v55 :: v_dual_add_f32 v52, v52, v65
	v_dual_add_f32 v46, v53, v46 :: v_dual_add_f32 v53, v64, v0
	v_fma_f32 v67, 0x3eae86e6, v67, -v76
	v_add_f32_e32 v54, v54, v65
	v_add_f32_e32 v65, v69, v65
	v_fma_f32 v66, 0xbf5ff5aa, v66, -v68
	s_delay_alu instid0(VALU_DEP_4) | instskip(NEXT) | instid1(VALU_DEP_2)
	v_dual_add_f32 v0, v117, v109 :: v_dual_fmac_f32 v67, 0xbee1c552, v55
	v_dual_sub_f32 v69, v108, v116 :: v_dual_fmac_f32 v66, 0xbee1c552, v55
	v_sub_f32_e32 v55, v52, v71
	s_delay_alu instid0(VALU_DEP_3) | instskip(SKIP_1) | instid1(VALU_DEP_4)
	v_dual_sub_f32 v64, v65, v67 :: v_dual_add_f32 v65, v67, v65
	v_add_f32_e32 v52, v71, v52
	v_add_f32_e32 v68, v66, v54
	v_sub_f32_e32 v54, v54, v66
	v_add_f32_e32 v66, v115, v107
	s_delay_alu instid0(VALU_DEP_1) | instskip(SKIP_1) | instid1(VALU_DEP_2)
	v_dual_add_f32 v76, v113, v111 :: v_dual_sub_f32 v81, v66, v0
	v_add_f32_e32 v80, v0, v66
	v_sub_f32_e32 v0, v0, v76
	v_sub_f32_e32 v66, v76, v66
	s_delay_alu instid0(VALU_DEP_3)
	v_add_f32_e32 v76, v80, v76
	v_sub_f32_e32 v80, v79, v77
	v_sub_f32_e32 v77, v77, v69
	;; [unrolled: 1-line block ×3, first 2 shown]
	v_add_f32_e32 v69, v69, v84
	v_mul_f32_e32 v85, 0x3f4a47b2, v0
	v_mul_f32_e32 v80, 0x3f08b237, v80
	;; [unrolled: 1-line block ×4, first 2 shown]
	s_delay_alu instid0(VALU_DEP_3) | instskip(NEXT) | instid1(VALU_DEP_2)
	v_fma_f32 v77, 0xbf5ff5aa, v77, -v80
	v_fmamk_f32 v0, v0, 0x3f4a47b2, v66
	v_fma_f32 v66, 0x3f3bfb3b, v81, -v66
	v_fma_f32 v81, 0xbf3bfb3b, v81, -v85
	s_delay_alu instid0(VALU_DEP_4) | instskip(SKIP_2) | instid1(VALU_DEP_2)
	v_fmac_f32_e32 v77, 0xbee1c552, v69
	v_dual_add_f32 v84, v76, v101 :: v_dual_fmamk_f32 v85, v79, 0xbeae86e6, v80
	v_fma_f32 v79, 0x3eae86e6, v79, -v86
	v_fmamk_f32 v76, v76, 0xbf955555, v84
	s_delay_alu instid0(VALU_DEP_3) | instskip(NEXT) | instid1(VALU_DEP_2)
	v_fmac_f32_e32 v85, 0xbee1c552, v69
	v_dual_fmac_f32 v79, 0xbee1c552, v69 :: v_dual_add_f32 v0, v0, v76
	v_add_f32_e32 v66, v66, v76
	s_delay_alu instid0(VALU_DEP_2) | instskip(NEXT) | instid1(VALU_DEP_2)
	v_dual_add_f32 v76, v81, v76 :: v_dual_sub_f32 v67, v0, v85
	v_add_f32_e32 v71, v77, v66
	s_delay_alu instid0(VALU_DEP_2)
	v_dual_sub_f32 v69, v76, v79 :: v_dual_sub_f32 v66, v66, v77
	v_add_f32_e32 v76, v79, v76
	v_add_f32_e32 v0, v85, v0
	ds_store_2addr_b32 v6, v7, v4 offset1:1
	ds_store_2addr_b32 v6, v12, v13 offset0:2 offset1:3
	ds_store_2addr_b32 v6, v8, v1 offset0:4 offset1:5
	ds_store_b32 v6, v5 offset:24
	ds_store_2addr_b32 v10, v11, v31 offset1:1
	ds_store_2addr_b32 v10, v39, v43 offset0:2 offset1:3
	ds_store_2addr_b32 v10, v32, v40 offset0:4 offset1:5
	ds_store_b32 v10, v9 offset:24
	;; [unrolled: 4-line block ×5, first 2 shown]
	global_wb scope:SCOPE_SE
	s_wait_dscnt 0x0
	s_barrier_signal -1
	s_barrier_wait -1
	global_inv scope:SCOPE_SE
	ds_load_2addr_b32 v[92:93], v124 offset0:35 offset1:52
	ds_load_2addr_b32 v[90:91], v124 offset0:70 offset1:87
	ds_load_2addr_b32 v[86:87], v124 offset0:105 offset1:122
	ds_load_2addr_b32 v[84:85], v124 offset0:140 offset1:157
	ds_load_2addr_b32 v[80:81], v124 offset0:175 offset1:192
	ds_load_2addr_b32 v[78:79], v124 offset0:210 offset1:227
	ds_load_2addr_b32 v[76:77], v136 offset0:117 offset1:134
	ds_load_2addr_b32 v[70:71], v135 offset0:24 offset1:41
	ds_load_2addr_b32 v[68:69], v135 offset0:59 offset1:76
	ds_load_2addr_b32 v[66:67], v135 offset0:94 offset1:111
	ds_load_2addr_b32 v[64:65], v135 offset0:129 offset1:146
	ds_load_2addr_b32 v[54:55], v135 offset0:164 offset1:181
	ds_load_2addr_b32 v[52:53], v135 offset0:199 offset1:216
	ds_load_2addr_b32 v[45:46], v135 offset0:234 offset1:251
	ds_load_2addr_b32 v[6:7], v134 offset0:13 offset1:30
	ds_load_2addr_b32 v[4:5], v134 offset0:48 offset1:65
	ds_load_b32 v97, v100
	ds_load_b32 v49, v125
                                        ; implicit-def: $vgpr10
                                        ; implicit-def: $vgpr8
                                        ; implicit-def: $vgpr41
                                        ; implicit-def: $vgpr39
                                        ; implicit-def: $vgpr13
                                        ; implicit-def: $vgpr32
                                        ; implicit-def: $vgpr44
	s_and_saveexec_b32 s1, s0
	s_cbranch_execz .LBB0_16
; %bb.15:
	v_add_nc_u32_e32 v12, 0x200, v131
	v_add_nc_u32_e32 v13, 0x400, v131
	;; [unrolled: 1-line block ×3, first 2 shown]
	ds_load_2addr_b32 v[0:1], v131 offset0:34 offset1:69
	ds_load_2addr_b32 v[10:11], v131 offset0:104 offset1:139
	;; [unrolled: 1-line block ×8, first 2 shown]
	ds_load_b32 v147, v131 offset:2376
.LBB0_16:
	s_wait_alu 0xfffe
	s_or_b32 exec_lo, exec_lo, s1
	v_and_b32_e32 v94, 0xff, v122
	v_and_b32_e32 v95, 0xff, v123
	s_delay_alu instid0(VALU_DEP_2) | instskip(NEXT) | instid1(VALU_DEP_2)
	v_mul_lo_u16 v94, v94, 37
	v_mul_lo_u16 v95, v95, 37
	s_delay_alu instid0(VALU_DEP_2) | instskip(NEXT) | instid1(VALU_DEP_2)
	v_lshrrev_b16 v94, 8, v94
	v_lshrrev_b16 v95, 8, v95
	s_delay_alu instid0(VALU_DEP_2) | instskip(NEXT) | instid1(VALU_DEP_2)
	v_sub_nc_u16 v96, v122, v94
	v_sub_nc_u16 v98, v123, v95
	s_delay_alu instid0(VALU_DEP_2) | instskip(NEXT) | instid1(VALU_DEP_2)
	v_lshrrev_b16 v96, 1, v96
	v_lshrrev_b16 v98, 1, v98
	s_delay_alu instid0(VALU_DEP_2) | instskip(NEXT) | instid1(VALU_DEP_2)
	v_and_b32_e32 v96, 0x7f, v96
	v_and_b32_e32 v98, 0x7f, v98
	s_delay_alu instid0(VALU_DEP_2) | instskip(NEXT) | instid1(VALU_DEP_2)
	v_add_nc_u16 v94, v96, v94
	v_add_nc_u16 v95, v98, v95
	s_delay_alu instid0(VALU_DEP_2) | instskip(NEXT) | instid1(VALU_DEP_2)
	v_lshrrev_b16 v140, 2, v94
	v_lshrrev_b16 v141, 2, v95
	s_delay_alu instid0(VALU_DEP_2) | instskip(NEXT) | instid1(VALU_DEP_2)
	v_mul_lo_u16 v94, v140, 7
	v_mul_lo_u16 v95, v141, 7
	v_and_b32_e32 v140, 0xffff, v140
	v_and_b32_e32 v141, 0xffff, v141
	s_delay_alu instid0(VALU_DEP_4) | instskip(NEXT) | instid1(VALU_DEP_4)
	v_sub_nc_u16 v94, v122, v94
	v_sub_nc_u16 v95, v123, v95
	s_delay_alu instid0(VALU_DEP_4) | instskip(NEXT) | instid1(VALU_DEP_4)
	v_mad_u32_u24 v140, 0x1dc, v140, 0
	v_mad_u32_u24 v141, 0x1dc, v141, 0
	s_delay_alu instid0(VALU_DEP_4) | instskip(NEXT) | instid1(VALU_DEP_4)
	v_and_b32_e32 v144, 0xff, v94
	v_and_b32_e32 v142, 0xff, v95
	s_delay_alu instid0(VALU_DEP_2) | instskip(NEXT) | instid1(VALU_DEP_2)
	v_lshlrev_b32_e32 v94, 7, v144
	v_lshlrev_b32_e32 v95, 7, v142
	s_clause 0x5
	global_load_b128 v[106:109], v94, s[8:9]
	global_load_b128 v[110:113], v95, s[8:9]
	global_load_b128 v[114:117], v94, s[8:9] offset:16
	global_load_b128 v[136:139], v95, s[8:9] offset:16
	global_load_b128 v[148:151], v94, s[8:9] offset:32
	global_load_b128 v[152:155], v95, s[8:9] offset:32
	s_wait_loadcnt_dscnt 0x510
	v_dual_mul_f32 v131, v90, v109 :: v_dual_and_b32 v96, 0xff, v126
	v_mul_f32_e32 v99, v118, v109
	s_wait_loadcnt 0x4
	v_mul_f32_e32 v101, v121, v111
	s_clause 0x1
	global_load_b128 v[156:159], v94, s[8:9] offset:48
	global_load_b128 v[164:167], v94, s[8:9] offset:64
	v_fmac_f32_e32 v131, v118, v108
	v_mul_lo_u16 v96, v96, 37
	s_clause 0x1
	global_load_b128 v[172:175], v94, s[8:9] offset:80
	global_load_b128 v[180:183], v94, s[8:9] offset:96
	v_fma_f32 v132, v90, v108, -v99
	v_mul_f32_e32 v90, v119, v113
	v_lshrrev_b16 v96, 8, v96
	v_mul_f32_e32 v133, v92, v107
	s_wait_loadcnt 0x6
	v_mul_f32_e32 v99, v105, v137
	s_wait_loadcnt_dscnt 0x50c
	v_mul_f32_e32 v109, v78, v151
	v_sub_nc_u16 v98, v126, v96
	v_fmac_f32_e32 v133, v120, v106
	v_lshlrev_b32_e32 v142, 2, v142
	s_delay_alu instid0(VALU_DEP_4) | instskip(NEXT) | instid1(VALU_DEP_4)
	v_fmac_f32_e32 v109, v82, v150
	v_lshrrev_b16 v98, 1, v98
	s_delay_alu instid0(VALU_DEP_3) | instskip(NEXT) | instid1(VALU_DEP_2)
	v_add3_u32 v141, v141, v142, v128
	v_and_b32_e32 v98, 0x7f, v98
	s_delay_alu instid0(VALU_DEP_1) | instskip(NEXT) | instid1(VALU_DEP_1)
	v_add_nc_u16 v96, v98, v96
	v_lshrrev_b16 v96, 2, v96
	s_delay_alu instid0(VALU_DEP_1) | instskip(NEXT) | instid1(VALU_DEP_1)
	v_mul_lo_u16 v96, v96, 7
	v_sub_nc_u16 v96, v126, v96
	s_delay_alu instid0(VALU_DEP_1)
	v_dual_mul_f32 v96, v120, v107 :: v_dual_and_b32 v143, 0xff, v96
	s_clause 0x5
	global_load_b128 v[160:163], v95, s[8:9] offset:48
	global_load_b128 v[168:171], v95, s[8:9] offset:64
	;; [unrolled: 1-line block ×6, first 2 shown]
	v_dual_mul_f32 v94, v91, v113 :: v_dual_mul_f32 v95, v93, v111
	v_fma_f32 v135, v92, v106, -v96
	v_fma_f32 v96, v93, v110, -v101
	;; [unrolled: 1-line block ×3, first 2 shown]
	s_delay_alu instid0(VALU_DEP_4) | instskip(SKIP_4) | instid1(VALU_DEP_4)
	v_dual_fmac_f32 v94, v119, v112 :: v_dual_mul_f32 v91, v104, v115
	v_mul_f32_e32 v119, v86, v115
	v_mul_f32_e32 v92, v102, v117
	v_dual_mul_f32 v113, v84, v117 :: v_dual_lshlrev_b32 v98, 7, v143
	v_fmac_f32_e32 v95, v121, v110
	v_fmac_f32_e32 v119, v104, v114
	v_fma_f32 v120, v86, v114, -v91
	v_fma_f32 v115, v84, v116, -v92
	v_mul_f32_e32 v86, v85, v139
	v_dual_mul_f32 v90, v87, v137 :: v_dual_fmac_f32 v113, v102, v116
	v_mul_f32_e32 v84, v103, v139
	v_fma_f32 v92, v87, v136, -v99
	s_delay_alu instid0(VALU_DEP_4) | instskip(NEXT) | instid1(VALU_DEP_4)
	v_fmac_f32_e32 v86, v103, v138
	v_fmac_f32_e32 v90, v105, v136
	v_dual_mul_f32 v114, v80, v149 :: v_dual_mul_f32 v87, v82, v151
	v_fma_f32 v91, v85, v138, -v84
	v_mul_f32_e32 v85, v88, v149
	s_clause 0x5
	global_load_b128 v[196:199], v98, s[8:9]
	global_load_b128 v[200:203], v98, s[8:9] offset:16
	global_load_b128 v[204:207], v98, s[8:9] offset:32
	;; [unrolled: 1-line block ×5, first 2 shown]
	s_wait_loadcnt 0x10
	v_mul_f32_e32 v84, v81, v153
	v_dual_mul_f32 v99, v89, v153 :: v_dual_fmac_f32 v114, v88, v148
	v_fma_f32 v116, v80, v148, -v85
	v_fma_f32 v111, v78, v150, -v87
	s_clause 0x1
	global_load_b128 v[148:151], v98, s[8:9] offset:96
	global_load_b128 v[220:223], v98, s[8:9] offset:112
	v_mul_f32_e32 v80, v79, v155
	v_mul_f32_e32 v78, v83, v155
	v_fmac_f32_e32 v84, v89, v152
	v_fma_f32 v85, v81, v152, -v99
	v_lshlrev_b32_e32 v144, 2, v144
	global_wb scope:SCOPE_SE
	s_wait_loadcnt_dscnt 0x0
	v_fma_f32 v81, v79, v154, -v78
	s_barrier_signal -1
	s_barrier_wait -1
	v_add3_u32 v140, v140, v144, v128
	global_inv scope:SCOPE_SE
	v_mul_f32_e32 v82, v74, v157
	v_mul_f32_e32 v102, v70, v159
	v_dual_mul_f32 v108, v66, v167 :: v_dual_mul_f32 v103, v68, v165
	v_mul_f32_e32 v118, v54, v175
	v_mul_f32_e32 v134, v52, v181
	;; [unrolled: 1-line block ×3, first 2 shown]
	s_delay_alu instid0(VALU_DEP_4) | instskip(SKIP_4) | instid1(VALU_DEP_4)
	v_dual_mul_f32 v136, v45, v183 :: v_dual_fmac_f32 v103, v62, v164
	v_dual_mul_f32 v79, v77, v161 :: v_dual_fmac_f32 v80, v83, v154
	v_mul_f32_e32 v106, v76, v157
	v_mul_f32_e32 v83, v72, v159
	;; [unrolled: 1-line block ×3, first 2 shown]
	v_fmac_f32_e32 v79, v75, v160
	v_dual_mul_f32 v78, v71, v163 :: v_dual_mul_f32 v89, v53, v185
	v_fmac_f32_e32 v106, v74, v156
	v_fma_f32 v104, v70, v158, -v83
	v_dual_mul_f32 v70, v73, v163 :: v_dual_mul_f32 v137, v59, v177
	v_dual_mul_f32 v74, v62, v165 :: v_dual_mul_f32 v83, v60, v167
	v_fma_f32 v107, v76, v156, -v82
	v_fma_f32 v76, v77, v160, -v87
	v_dual_mul_f32 v77, v63, v169 :: v_dual_fmac_f32 v102, v72, v158
	v_dual_mul_f32 v75, v67, v171 :: v_dual_mul_f32 v72, v69, v169
	v_dual_mul_f32 v87, v55, v179 :: v_dual_fmac_f32 v78, v73, v162
	v_fma_f32 v73, v71, v162, -v70
	v_dual_mul_f32 v71, v56, v175 :: v_dual_mul_f32 v82, v65, v177
	v_mul_f32_e32 v139, v4, v191
	v_fma_f32 v105, v68, v164, -v74
	v_fma_f32 v74, v69, v168, -v77
	v_dual_mul_f32 v69, v51, v185 :: v_dual_fmac_f32 v108, v60, v166
	v_mul_f32_e32 v155, v14, v191
	v_mul_f32_e32 v98, v46, v187
	v_dual_mul_f32 v88, v61, v171 :: v_dual_mul_f32 v99, v7, v193
	v_dual_mul_f32 v112, v64, v173 :: v_dual_fmac_f32 v75, v61, v170
	v_dual_mul_f32 v70, v58, v173 :: v_dual_mul_f32 v153, v48, v187
	v_fma_f32 v110, v66, v166, -v83
	v_mul_f32_e32 v68, v57, v179
	v_dual_fmac_f32 v72, v63, v168 :: v_dual_fmac_f32 v87, v57, v178
	v_dual_mul_f32 v63, v47, v183 :: v_dual_mul_f32 v154, v21, v189
	v_fmac_f32_e32 v89, v51, v184
	v_mul_f32_e32 v101, v5, v195
	v_dual_mul_f32 v66, v10, v199 :: v_dual_mul_f32 v61, v32, v149
	v_dual_fmac_f32 v82, v59, v176 :: v_dual_mul_f32 v165, v29, v219
	v_mul_f32_e32 v157, v27, v199
	v_mul_f32_e32 v158, v25, v203
	v_dual_mul_f32 v59, v9, v205 :: v_dual_fmac_f32 v134, v50, v180
	v_fma_f32 v50, v52, v180, -v152
	v_dual_fmac_f32 v98, v48, v186 :: v_dual_fmac_f32 v61, v30, v148
	v_fma_f32 v48, v4, v190, -v155
	v_dual_mul_f32 v138, v6, v189 :: v_dual_mul_f32 v57, v41, v207
	v_fma_f32 v77, v67, v170, -v88
	v_fma_f32 v117, v64, v172, -v70
	;; [unrolled: 1-line block ×3, first 2 shown]
	v_dual_mul_f32 v64, v15, v195 :: v_dual_mul_f32 v67, v1, v197
	v_dual_fmac_f32 v118, v56, v174 :: v_dual_mul_f32 v159, v26, v205
	v_mul_f32_e32 v71, v3, v197
	v_mul_f32_e32 v62, v11, v201
	v_fma_f32 v83, v65, v176, -v137
	v_mul_f32_e32 v65, v28, v201
	v_dual_mul_f32 v60, v8, v203 :: v_dual_mul_f32 v149, v30, v149
	v_fma_f32 v88, v55, v178, -v68
	v_dual_mul_f32 v160, v35, v207 :: v_dual_fmac_f32 v139, v14, v190
	v_dual_mul_f32 v55, v42, v209 :: v_dual_mul_f32 v54, v39, v211
	v_dual_fmac_f32 v99, v22, v192 :: v_dual_fmac_f32 v136, v47, v182
	v_fmac_f32_e32 v59, v26, v204
	v_fma_f32 v137, v45, v182, -v63
	v_dual_mul_f32 v152, v33, v211 :: v_dual_fmac_f32 v101, v15, v194
	v_dual_mul_f32 v56, v43, v215 :: v_dual_fmac_f32 v55, v36, v208
	v_fma_f32 v45, v53, v184, -v69
	v_mul_f32_e32 v53, v31, v219
	v_fma_f32 v46, v46, v186, -v153
	v_dual_mul_f32 v63, v12, v151 :: v_dual_mul_f32 v68, v13, v221
	v_mul_f32_e32 v153, v24, v221
	v_fma_f32 v51, v6, v188, -v154
	v_fma_f32 v15, v8, v202, -v158
	s_delay_alu instid0(VALU_DEP_4)
	v_fmac_f32_e32 v63, v23, v150
	v_sub_f32_e32 v26, v115, v50
	v_sub_f32_e32 v8, v135, v48
	v_dual_mul_f32 v156, v22, v193 :: v_dual_mul_f32 v163, v37, v215
	v_dual_fmac_f32 v112, v58, v172 :: v_dual_mul_f32 v161, v36, v209
	v_dual_mul_f32 v52, v40, v213 :: v_dual_mul_f32 v151, v23, v151
	v_dual_mul_f32 v58, v44, v217 :: v_dual_fmac_f32 v57, v35, v206
	v_dual_mul_f32 v164, v38, v217 :: v_dual_fmac_f32 v53, v29, v218
	v_mul_f32_e32 v70, v147, v223
	v_dual_fmac_f32 v138, v21, v188 :: v_dual_sub_f32 v23, v132, v51
	v_mul_f32_e32 v154, v146, v223
	v_fmac_f32_e32 v66, v27, v198
	v_fma_f32 v69, v10, v198, -v157
	v_fmac_f32_e32 v62, v28, v200
	v_fma_f32 v10, v9, v204, -v159
	v_dual_fmac_f32 v54, v33, v210 :: v_dual_sub_f32 v29, v116, v121
	v_fmac_f32_e32 v68, v24, v220
	v_fma_f32 v13, v13, v220, -v153
	v_add_f32_e32 v9, v133, v139
	v_mul_f32_e32 v153, 0xbf7ee86f, v26
	v_fmac_f32_e32 v56, v37, v214
	v_dual_sub_f32 v24, v120, v137 :: v_dual_mul_f32 v35, 0xbf763a35, v8
	v_dual_add_f32 v28, v145, v133 :: v_dual_mul_f32 v37, 0xbf06c442, v8
	v_dual_mul_f32 v162, v34, v213 :: v_dual_fmac_f32 v67, v3, v196
	v_fma_f32 v22, v7, v192, -v156
	v_fma_f32 v47, v5, v194, -v64
	;; [unrolled: 1-line block ×7, first 2 shown]
	v_add_f32_e32 v11, v131, v138
	v_fma_f32 v65, v147, v222, -v154
	v_add_f32_e32 v27, v113, v134
	v_dual_fmac_f32 v70, v146, v222 :: v_dual_mul_f32 v33, 0xbf65296c, v8
	v_dual_mul_f32 v42, 0x3f06c442, v23 :: v_dual_mul_f32 v161, 0x3f06c442, v29
	v_mul_f32_e32 v147, 0xbf4c4adb, v24
	v_dual_mul_f32 v151, 0xbeb8f4ab, v24 :: v_dual_add_f32 v28, v28, v131
	v_mul_f32_e32 v32, 0xbf2c7751, v8
	s_delay_alu instid0(VALU_DEP_4)
	v_dual_fmamk_f32 v173, v9, 0xbf59a7d5, v37 :: v_dual_fmamk_f32 v178, v11, 0xbf59a7d5, v42
	v_fma_f32 v37, 0xbf59a7d5, v9, -v37
	v_mul_f32_e32 v44, 0x3f65296c, v23
	v_fma_f32 v71, v1, v196, -v71
	v_fma_f32 v1, v39, v210, -v152
	;; [unrolled: 1-line block ×3, first 2 shown]
	v_add_f32_e32 v37, v145, v37
	v_fma_f32 v14, v31, v218, -v165
	v_mul_f32_e32 v31, 0xbeb8f4ab, v8
	v_mul_f32_e32 v39, 0xbf7ee86f, v23
	v_dual_mul_f32 v40, 0xbf4c4adb, v23 :: v_dual_add_f32 v173, v145, v173
	v_dual_fmamk_f32 v169, v9, 0x3ee437d1, v33 :: v_dual_fmamk_f32 v180, v11, 0x3ee437d1, v44
	v_fmamk_f32 v168, v9, 0x3f3d2fb0, v32
	v_mul_f32_e32 v155, 0x3f763a35, v26
	v_dual_fmamk_f32 v175, v11, 0x3dbcf732, v39 :: v_dual_fmac_f32 v60, v25, v202
	v_add_f32_e32 v25, v119, v136
	s_delay_alu instid0(VALU_DEP_4)
	v_add_f32_e32 v168, v145, v168
	v_fmamk_f32 v167, v9, 0x3f6eb680, v31
	v_fma_f32 v31, 0x3f6eb680, v9, -v31
	v_mul_f32_e32 v36, 0xbf4c4adb, v8
	v_dual_add_f32 v30, v114, v118 :: v_dual_mul_f32 v149, 0x3f763a35, v24
	v_fma_f32 v32, 0x3f3d2fb0, v9, -v32
	v_fma_f32 v33, 0x3ee437d1, v9, -v33
	v_fmamk_f32 v171, v9, 0xbe8c1d8e, v35
	v_mul_f32_e32 v148, 0x3e3c28d5, v24
	v_fma_f32 v44, 0x3ee437d1, v11, -v44
	v_add_f32_e32 v31, v145, v31
	v_fmamk_f32 v172, v9, 0xbf1a4643, v36
	v_fma_f32 v36, 0xbf1a4643, v9, -v36
	v_fmac_f32_e32 v52, v34, v212
	v_fmac_f32_e32 v58, v38, v216
	v_dual_mul_f32 v38, 0xbf2c7751, v23 :: v_dual_add_f32 v33, v145, v33
	v_dual_mul_f32 v159, 0x3f4c4adb, v26 :: v_dual_add_f32 v32, v145, v32
	v_fma_f32 v39, 0x3dbcf732, v11, -v39
	v_add_f32_e32 v171, v145, v171
	v_fmamk_f32 v183, v25, 0xbf7ba420, v148
	v_fma_f32 v148, 0xbf7ba420, v25, -v148
	v_fmamk_f32 v176, v11, 0xbf1a4643, v40
	v_fma_f32 v40, 0xbf1a4643, v11, -v40
	v_add_f32_e32 v36, v145, v36
	v_add_f32_e32 v168, v175, v168
	v_dual_mul_f32 v34, 0xbf7ee86f, v8 :: v_dual_add_f32 v167, v145, v167
	v_dual_mul_f32 v8, 0xbe3c28d5, v8 :: v_dual_add_f32 v169, v145, v169
	v_fma_f32 v6, v41, v206, -v160
	v_fma_f32 v5, v43, v214, -v163
	v_mul_f32_e32 v41, 0xbe3c28d5, v23
	v_mul_f32_e32 v43, 0x3f763a35, v23
	v_mul_f32_e32 v23, 0x3eb8f4ab, v23
	v_dual_mul_f32 v146, 0xbf65296c, v24 :: v_dual_mul_f32 v157, 0xbf65296c, v26
	v_dual_mul_f32 v158, 0xbf06c442, v26 :: v_dual_add_f32 v33, v40, v33
	v_fmamk_f32 v170, v9, 0x3dbcf732, v34
	v_fma_f32 v34, 0x3dbcf732, v9, -v34
	v_fma_f32 v35, 0xbe8c1d8e, v9, -v35
	v_mul_f32_e32 v150, 0x3f2c7751, v24
	v_dual_fmamk_f32 v174, v9, 0xbf7ba420, v8 :: v_dual_fmamk_f32 v177, v11, 0xbf7ba420, v41
	v_fma_f32 v8, 0xbf7ba420, v9, -v8
	v_add_f32_e32 v37, v44, v37
	v_dual_fmamk_f32 v9, v11, 0x3f3d2fb0, v38 :: v_dual_add_f32 v172, v145, v172
	v_mul_f32_e32 v152, 0xbf7ee86f, v24
	v_fma_f32 v38, 0x3f3d2fb0, v11, -v38
	v_mul_f32_e32 v24, 0xbf06c442, v24
	v_mul_f32_e32 v154, 0xbe3c28d5, v26
	v_dual_mul_f32 v165, 0x3f7ee86f, v29 :: v_dual_add_f32 v34, v145, v34
	v_fma_f32 v41, 0xbf7ba420, v11, -v41
	v_fma_f32 v42, 0xbf59a7d5, v11, -v42
	v_dual_fmamk_f32 v179, v11, 0xbe8c1d8e, v43 :: v_dual_add_f32 v174, v145, v174
	v_fma_f32 v43, 0xbe8c1d8e, v11, -v43
	v_dual_fmamk_f32 v181, v11, 0x3f6eb680, v23 :: v_dual_add_f32 v8, v145, v8
	v_fma_f32 v11, 0x3f6eb680, v11, -v23
	v_dual_fmamk_f32 v23, v25, 0x3ee437d1, v146 :: v_dual_fmamk_f32 v192, v27, 0x3ee437d1, v157
	v_fma_f32 v146, 0x3ee437d1, v25, -v146
	v_fmamk_f32 v184, v25, 0xbe8c1d8e, v149
	v_fma_f32 v149, 0xbe8c1d8e, v25, -v149
	v_add_f32_e32 v35, v145, v35
	v_fmamk_f32 v185, v25, 0x3f3d2fb0, v150
	v_fma_f32 v150, 0x3f3d2fb0, v25, -v150
	v_add_f32_e32 v9, v9, v167
	v_fmamk_f32 v182, v25, 0xbf1a4643, v147
	v_fma_f32 v147, 0xbf1a4643, v25, -v147
	v_fmamk_f32 v187, v25, 0x3dbcf732, v152
	v_fma_f32 v152, 0x3dbcf732, v25, -v152
	v_add_f32_e32 v31, v38, v31
	v_fmamk_f32 v38, v30, 0x3dbcf732, v165
	v_add_f32_e32 v32, v39, v32
	v_fmamk_f32 v188, v25, 0xbf59a7d5, v24
	v_fma_f32 v24, 0xbf59a7d5, v25, -v24
	v_dual_add_f32 v33, v148, v33 :: v_dual_mul_f32 v156, 0x3eb8f4ab, v26
	v_dual_add_f32 v39, v176, v169 :: v_dual_mul_f32 v26, 0x3f2c7751, v26
	v_fmamk_f32 v186, v25, 0x3f6eb680, v151
	v_fma_f32 v151, 0x3f6eb680, v25, -v151
	s_delay_alu instid0(VALU_DEP_4) | instskip(SKIP_4) | instid1(VALU_DEP_3)
	v_fmamk_f32 v191, v27, 0x3f6eb680, v156
	v_fmamk_f32 v25, v27, 0x3dbcf732, v153
	v_dual_mul_f32 v163, 0xbf65296c, v29 :: v_dual_add_f32 v170, v145, v170
	v_dual_mul_f32 v160, 0xbf763a35, v29 :: v_dual_add_f32 v35, v42, v35
	v_fma_f32 v153, 0x3dbcf732, v27, -v153
	v_dual_fmamk_f32 v189, v27, 0xbf7ba420, v154 :: v_dual_add_f32 v40, v177, v170
	v_fma_f32 v154, 0xbf7ba420, v27, -v154
	v_fmamk_f32 v190, v27, 0xbe8c1d8e, v155
	v_fma_f32 v155, 0xbe8c1d8e, v27, -v155
	v_fma_f32 v156, 0x3f6eb680, v27, -v156
	;; [unrolled: 1-line block ×3, first 2 shown]
	v_dual_fmamk_f32 v193, v27, 0xbf59a7d5, v158 :: v_dual_fmamk_f32 v196, v30, 0xbf59a7d5, v161
	v_fma_f32 v158, 0xbf59a7d5, v27, -v158
	v_dual_fmamk_f32 v194, v27, 0xbf1a4643, v159 :: v_dual_add_f32 v35, v150, v35
	v_fma_f32 v159, 0xbf1a4643, v27, -v159
	v_dual_fmamk_f32 v145, v30, 0x3ee437d1, v163 :: v_dual_add_f32 v34, v41, v34
	v_add_f32_e32 v41, v178, v171
	v_dual_fmamk_f32 v195, v27, 0x3f3d2fb0, v26 :: v_dual_add_f32 v44, v181, v174
	v_fma_f32 v26, 0x3f3d2fb0, v27, -v26
	v_dual_add_f32 v27, v28, v119 :: v_dual_mul_f32 v164, 0xbe3c28d5, v29
	v_add_f32_e32 v8, v11, v8
	v_add_f32_e32 v9, v23, v9
	;; [unrolled: 1-line block ×3, first 2 shown]
	s_delay_alu instid0(VALU_DEP_4) | instskip(SKIP_3) | instid1(VALU_DEP_4)
	v_add_f32_e32 v27, v27, v113
	v_mul_f32_e32 v162, 0x3f2c7751, v29
	v_dual_fmamk_f32 v167, v30, 0xbf7ba420, v164 :: v_dual_add_f32 v42, v179, v172
	v_add_f32_e32 v31, v147, v32
	v_add_f32_e32 v27, v27, v114
	s_delay_alu instid0(VALU_DEP_4) | instskip(SKIP_1) | instid1(VALU_DEP_3)
	v_dual_add_f32 v32, v183, v39 :: v_dual_fmamk_f32 v197, v30, 0x3f3d2fb0, v162
	v_dual_add_f32 v36, v43, v36 :: v_dual_add_f32 v43, v180, v173
	v_add_f32_e32 v11, v27, v109
	v_dual_add_f32 v39, v184, v40 :: v_dual_add_f32 v40, v185, v41
	v_add_f32_e32 v8, v24, v8
	v_dual_mul_f32 v166, 0xbeb8f4ab, v29 :: v_dual_add_f32 v27, v182, v168
	s_delay_alu instid0(VALU_DEP_4) | instskip(SKIP_3) | instid1(VALU_DEP_4)
	v_add_f32_e32 v11, v11, v106
	v_dual_add_f32 v41, v186, v42 :: v_dual_add_f32 v42, v187, v43
	v_add_f32_e32 v43, v188, v44
	v_dual_add_f32 v36, v151, v36 :: v_dual_add_f32 v37, v152, v37
	v_add_f32_e32 v11, v11, v102
	v_add_f32_e32 v34, v149, v34
	;; [unrolled: 1-line block ×8, first 2 shown]
	v_dual_add_f32 v31, v155, v33 :: v_dual_add_f32 v36, v158, v36
	s_delay_alu instid0(VALU_DEP_4)
	v_add_f32_e32 v11, v11, v108
	v_dual_add_f32 v32, v191, v39 :: v_dual_add_f32 v33, v156, v34
	v_add_f32_e32 v8, v26, v8
	v_add_f32_e32 v34, v192, v40
	v_dual_add_f32 v40, v193, v41 :: v_dual_add_f32 v41, v194, v42
	v_add_f32_e32 v42, v195, v43
	v_dual_add_f32 v11, v11, v112 :: v_dual_add_f32 v26, v197, v27
	v_fmamk_f32 v28, v30, 0xbe8c1d8e, v160
	v_fma_f32 v160, 0xbe8c1d8e, v30, -v160
	v_fma_f32 v162, 0x3f3d2fb0, v30, -v162
	s_delay_alu instid0(VALU_DEP_4) | instskip(SKIP_3) | instid1(VALU_DEP_4)
	v_dual_add_f32 v11, v11, v118 :: v_dual_add_f32 v24, v196, v24
	v_fma_f32 v163, 0x3ee437d1, v30, -v163
	v_add_f32_e32 v39, v157, v35
	v_mul_f32_e32 v29, 0xbf4c4adb, v29
	v_add_f32_e32 v11, v11, v134
	v_dual_add_f32 v9, v28, v9 :: v_dual_add_f32 v28, v145, v32
	v_add_f32_e32 v32, v167, v34
	v_fmamk_f32 v34, v30, 0x3f6eb680, v166
	v_fma_f32 v165, 0x3dbcf732, v30, -v165
	v_add_f32_e32 v11, v11, v136
	v_add_f32_e32 v23, v160, v23
	;; [unrolled: 1-line block ×3, first 2 shown]
	v_dual_add_f32 v34, v34, v41 :: v_dual_add_f32 v41, v109, v112
	v_add_f32_e32 v31, v163, v33
	v_dual_add_f32 v33, v38, v40 :: v_dual_sub_f32 v38, v111, v117
	v_fma_f32 v161, 0xbf59a7d5, v30, -v161
	v_fma_f32 v164, 0xbf7ba420, v30, -v164
	v_dual_add_f32 v37, v159, v37 :: v_dual_add_f32 v36, v165, v36
	v_fmamk_f32 v40, v30, 0xbf1a4643, v29
	v_mul_f32_e32 v43, 0xbf4c4adb, v38
	v_add_f32_e32 v11, v11, v138
	v_fma_f32 v29, 0xbf1a4643, v30, -v29
	v_add_f32_e32 v25, v161, v25
	s_delay_alu instid0(VALU_DEP_3)
	v_dual_sub_f32 v150, v93, v22 :: v_dual_add_f32 v35, v11, v139
	v_add_f32_e32 v11, v164, v39
	v_fma_f32 v39, 0x3f6eb680, v30, -v166
	v_add_f32_e32 v30, v40, v42
	v_fmamk_f32 v40, v41, 0xbf1a4643, v43
	v_fma_f32 v42, 0xbf1a4643, v41, -v43
	v_dual_add_f32 v8, v29, v8 :: v_dual_mul_f32 v29, 0xbeb8f4ab, v38
	v_mul_f32_e32 v151, 0xbf2c7751, v150
	s_delay_alu instid0(VALU_DEP_4) | instskip(NEXT) | instid1(VALU_DEP_4)
	v_add_f32_e32 v9, v40, v9
	v_dual_add_f32 v23, v42, v23 :: v_dual_mul_f32 v42, 0xbf06c442, v38
	v_add_f32_e32 v37, v39, v37
	v_mul_f32_e32 v39, 0x3f763a35, v38
	v_fmamk_f32 v40, v41, 0x3f6eb680, v29
	v_fma_f32 v29, 0x3f6eb680, v41, -v29
	s_delay_alu instid0(VALU_DEP_2) | instskip(SKIP_1) | instid1(VALU_DEP_3)
	v_add_f32_e32 v26, v40, v26
	v_fmamk_f32 v40, v41, 0xbf59a7d5, v42
	v_add_f32_e32 v27, v29, v27
	v_fma_f32 v29, 0xbf59a7d5, v41, -v42
	v_mul_f32_e32 v42, 0xbf2c7751, v38
	v_fmamk_f32 v43, v41, 0xbe8c1d8e, v39
	v_fma_f32 v39, 0xbe8c1d8e, v41, -v39
	s_delay_alu instid0(VALU_DEP_4) | instskip(NEXT) | instid1(VALU_DEP_4)
	v_dual_add_f32 v28, v40, v28 :: v_dual_add_f32 v29, v29, v31
	v_fma_f32 v40, 0x3f3d2fb0, v41, -v42
	s_delay_alu instid0(VALU_DEP_4) | instskip(NEXT) | instid1(VALU_DEP_4)
	v_dual_add_f32 v24, v43, v24 :: v_dual_fmamk_f32 v31, v41, 0x3f3d2fb0, v42
	v_add_f32_e32 v25, v39, v25
	s_delay_alu instid0(VALU_DEP_3) | instskip(NEXT) | instid1(VALU_DEP_3)
	v_dual_mul_f32 v39, 0x3f7ee86f, v38 :: v_dual_add_f32 v36, v40, v36
	v_add_f32_e32 v31, v31, v33
	v_mul_f32_e32 v33, 0x3f65296c, v38
	s_delay_alu instid0(VALU_DEP_1) | instskip(NEXT) | instid1(VALU_DEP_4)
	v_fmamk_f32 v42, v41, 0x3ee437d1, v33
	v_fmamk_f32 v43, v41, 0x3dbcf732, v39
	v_fma_f32 v39, 0x3dbcf732, v41, -v39
	s_delay_alu instid0(VALU_DEP_3) | instskip(NEXT) | instid1(VALU_DEP_3)
	v_add_f32_e32 v30, v42, v30
	v_add_f32_e32 v32, v43, v32
	s_delay_alu instid0(VALU_DEP_3) | instskip(SKIP_2) | instid1(VALU_DEP_2)
	v_add_f32_e32 v11, v39, v11
	v_mul_f32_e32 v39, 0xbe3c28d5, v38
	v_dual_sub_f32 v38, v107, v110 :: v_dual_add_f32 v43, v106, v108
	v_fmamk_f32 v40, v41, 0xbf7ba420, v39
	v_fma_f32 v39, 0xbf7ba420, v41, -v39
	s_delay_alu instid0(VALU_DEP_3) | instskip(SKIP_1) | instid1(VALU_DEP_3)
	v_mul_f32_e32 v44, 0xbf06c442, v38
	v_mul_f32_e32 v42, 0x3f4c4adb, v38
	v_dual_add_f32 v34, v40, v34 :: v_dual_add_f32 v37, v39, v37
	s_delay_alu instid0(VALU_DEP_3) | instskip(NEXT) | instid1(VALU_DEP_1)
	v_fmamk_f32 v39, v43, 0xbf59a7d5, v44
	v_dual_mul_f32 v40, 0x3f65296c, v38 :: v_dual_add_f32 v9, v39, v9
	s_delay_alu instid0(VALU_DEP_1) | instskip(SKIP_1) | instid1(VALU_DEP_1)
	v_fmamk_f32 v39, v43, 0x3ee437d1, v40
	v_fma_f32 v40, 0x3ee437d1, v43, -v40
	v_dual_add_f32 v24, v39, v24 :: v_dual_add_f32 v25, v40, v25
	v_mul_f32_e32 v40, 0xbeb8f4ab, v38
	v_fmamk_f32 v39, v43, 0xbf1a4643, v42
	s_delay_alu instid0(VALU_DEP_1) | instskip(SKIP_1) | instid1(VALU_DEP_4)
	v_add_f32_e32 v28, v39, v28
	v_fma_f32 v33, 0x3ee437d1, v41, -v33
	v_fmamk_f32 v39, v43, 0x3f6eb680, v40
	v_fma_f32 v40, 0x3f6eb680, v43, -v40
	v_fma_f32 v41, 0xbf59a7d5, v43, -v44
	s_delay_alu instid0(VALU_DEP_4) | instskip(NEXT) | instid1(VALU_DEP_3)
	v_dual_add_f32 v8, v33, v8 :: v_dual_mul_f32 v33, 0xbf7ee86f, v38
	v_dual_add_f32 v32, v39, v32 :: v_dual_add_f32 v39, v40, v11
	v_mul_f32_e32 v11, 0x3f2c7751, v38
	s_delay_alu instid0(VALU_DEP_1) | instskip(NEXT) | instid1(VALU_DEP_4)
	v_dual_add_f32 v23, v41, v23 :: v_dual_fmamk_f32 v40, v43, 0x3f3d2fb0, v11
	v_fmamk_f32 v41, v43, 0x3dbcf732, v33
	v_fma_f32 v33, 0x3dbcf732, v43, -v33
	v_fma_f32 v11, 0x3f3d2fb0, v43, -v11
	s_delay_alu instid0(VALU_DEP_4) | instskip(NEXT) | instid1(VALU_DEP_4)
	v_add_f32_e32 v34, v40, v34
	v_add_f32_e32 v26, v41, v26
	s_delay_alu instid0(VALU_DEP_4) | instskip(SKIP_3) | instid1(VALU_DEP_3)
	v_add_f32_e32 v27, v33, v27
	v_fma_f32 v33, 0xbf1a4643, v43, -v42
	v_mul_f32_e32 v41, 0xbe3c28d5, v38
	v_dual_mul_f32 v38, 0xbf763a35, v38 :: v_dual_add_f32 v37, v11, v37
	v_add_f32_e32 v29, v33, v29
	s_delay_alu instid0(VALU_DEP_3) | instskip(SKIP_1) | instid1(VALU_DEP_4)
	v_fmamk_f32 v33, v43, 0xbf7ba420, v41
	v_fma_f32 v41, 0xbf7ba420, v43, -v41
	v_fmamk_f32 v44, v43, 0xbe8c1d8e, v38
	v_fma_f32 v38, 0xbe8c1d8e, v43, -v38
	s_delay_alu instid0(VALU_DEP_4) | instskip(NEXT) | instid1(VALU_DEP_4)
	v_add_f32_e32 v31, v33, v31
	v_dual_add_f32 v33, v41, v36 :: v_dual_sub_f32 v36, v104, v105
	s_delay_alu instid0(VALU_DEP_4) | instskip(NEXT) | instid1(VALU_DEP_4)
	v_dual_add_f32 v41, v102, v103 :: v_dual_add_f32 v40, v44, v30
	v_add_f32_e32 v38, v38, v8
	s_delay_alu instid0(VALU_DEP_3) | instskip(SKIP_2) | instid1(VALU_DEP_3)
	v_mul_f32_e32 v42, 0xbe3c28d5, v36
	v_mul_f32_e32 v30, 0x3eb8f4ab, v36
	;; [unrolled: 1-line block ×3, first 2 shown]
	v_fmamk_f32 v11, v41, 0xbf7ba420, v42
	v_fma_f32 v8, 0xbf7ba420, v41, -v42
	s_delay_alu instid0(VALU_DEP_3) | instskip(NEXT) | instid1(VALU_DEP_3)
	v_fmamk_f32 v44, v41, 0xbf59a7d5, v43
	v_dual_add_f32 v42, v11, v9 :: v_dual_fmamk_f32 v9, v41, 0x3f6eb680, v30
	v_fma_f32 v30, 0x3f6eb680, v41, -v30
	s_delay_alu instid0(VALU_DEP_4)
	v_dual_add_f32 v8, v8, v23 :: v_dual_mul_f32 v23, 0x3f2c7751, v36
	ds_store_2addr_b32 v140, v35, v42 offset1:7
	v_add_f32_e32 v11, v9, v24
	v_add_f32_e32 v9, v30, v25
	v_fma_f32 v25, 0xbf59a7d5, v41, -v43
	v_fmamk_f32 v30, v41, 0x3f3d2fb0, v23
	v_add_f32_e32 v24, v44, v26
	v_fma_f32 v26, 0x3f3d2fb0, v41, -v23
	v_dual_mul_f32 v43, 0xbf4c4adb, v36 :: v_dual_add_f32 v42, v94, v99
	v_add_f32_e32 v23, v25, v27
	v_mul_f32_e32 v27, 0x3f65296c, v36
	s_delay_alu instid0(VALU_DEP_3) | instskip(SKIP_2) | instid1(VALU_DEP_4)
	v_dual_add_f32 v25, v30, v28 :: v_dual_fmamk_f32 v28, v41, 0xbf1a4643, v43
	v_mul_f32_e32 v44, 0xbf763a35, v36
	v_add_f32_e32 v26, v26, v29
	v_fmamk_f32 v30, v41, 0x3ee437d1, v27
	v_fma_f32 v29, 0xbf1a4643, v41, -v43
	v_add_f32_e32 v28, v28, v32
	v_fma_f32 v32, 0x3ee437d1, v41, -v27
	v_fmamk_f32 v153, v42, 0x3f3d2fb0, v151
	s_delay_alu instid0(VALU_DEP_4) | instskip(SKIP_1) | instid1(VALU_DEP_1)
	v_dual_mul_f32 v36, 0x3f7ee86f, v36 :: v_dual_add_f32 v27, v29, v39
	v_sub_f32_e32 v39, v96, v47
	v_mul_f32_e32 v144, 0xbf06c442, v39
	v_dual_add_f32 v29, v30, v31 :: v_dual_add_f32 v30, v32, v33
	v_fma_f32 v32, 0xbe8c1d8e, v41, -v44
	s_delay_alu instid0(VALU_DEP_1) | instskip(SKIP_1) | instid1(VALU_DEP_2)
	v_dual_add_f32 v32, v32, v37 :: v_dual_fmamk_f32 v43, v41, 0xbe8c1d8e, v44
	v_fmamk_f32 v33, v41, 0x3dbcf732, v36
	v_add_f32_e32 v31, v43, v34
	v_fma_f32 v34, 0x3dbcf732, v41, -v36
	v_dual_add_f32 v36, v95, v101 :: v_dual_mul_f32 v41, 0xbeb8f4ab, v39
	s_delay_alu instid0(VALU_DEP_2) | instskip(NEXT) | instid1(VALU_DEP_2)
	v_dual_add_f32 v33, v33, v40 :: v_dual_add_f32 v34, v34, v38
	v_fmamk_f32 v152, v36, 0xbf59a7d5, v144
	s_delay_alu instid0(VALU_DEP_3) | instskip(SKIP_2) | instid1(VALU_DEP_4)
	v_fmamk_f32 v38, v36, 0x3f6eb680, v41
	v_fma_f32 v40, 0x3f6eb680, v36, -v41
	v_fma_f32 v144, 0xbf59a7d5, v36, -v144
	v_add_f32_e32 v152, v130, v152
	s_delay_alu instid0(VALU_DEP_4) | instskip(NEXT) | instid1(VALU_DEP_4)
	v_add_f32_e32 v38, v130, v38
	v_add_f32_e32 v40, v130, v40
	s_delay_alu instid0(VALU_DEP_4)
	v_add_f32_e32 v144, v130, v144
	v_fma_f32 v151, 0x3f3d2fb0, v42, -v151
	v_mul_f32_e32 v155, 0xbf7ee86f, v150
	v_add_f32_e32 v38, v153, v38
	v_mul_f32_e32 v146, 0xbf763a35, v39
	v_mul_f32_e32 v44, 0xbf7ee86f, v39
	;; [unrolled: 1-line block ×3, first 2 shown]
	v_fma_f32 v153, 0x3dbcf732, v42, -v155
	s_delay_alu instid0(VALU_DEP_4)
	v_fmamk_f32 v148, v36, 0xbe8c1d8e, v146
	v_mul_f32_e32 v41, 0xbf65296c, v39
	v_fma_f32 v146, 0xbe8c1d8e, v36, -v146
	v_fmamk_f32 v35, v36, 0xbf1a4643, v149
	v_fma_f32 v149, 0xbf1a4643, v36, -v149
	v_dual_add_f32 v148, v130, v148 :: v_dual_fmamk_f32 v147, v36, 0x3dbcf732, v44
	v_fma_f32 v44, 0x3dbcf732, v36, -v44
	v_dual_mul_f32 v37, 0xbf2c7751, v39 :: v_dual_add_f32 v146, v130, v146
	v_mul_f32_e32 v39, 0xbe3c28d5, v39
	v_add_f32_e32 v149, v130, v149
	s_delay_alu instid0(VALU_DEP_3)
	v_dual_add_f32 v44, v130, v44 :: v_dual_fmamk_f32 v43, v36, 0x3f3d2fb0, v37
	v_fma_f32 v37, 0x3f3d2fb0, v36, -v37
	v_fmamk_f32 v145, v36, 0x3ee437d1, v41
	v_fma_f32 v41, 0x3ee437d1, v36, -v41
	v_fmamk_f32 v154, v36, 0xbf7ba420, v39
	v_fma_f32 v36, 0xbf7ba420, v36, -v39
	v_add_f32_e32 v39, v151, v40
	v_dual_mul_f32 v151, 0xbf4c4adb, v150 :: v_dual_add_f32 v40, v130, v43
	v_fmamk_f32 v43, v42, 0x3dbcf732, v155
	v_add_f32_e32 v41, v130, v41
	v_dual_add_f32 v36, v130, v36 :: v_dual_mul_f32 v155, 0xbe3c28d5, v150
	s_delay_alu instid0(VALU_DEP_4)
	v_fmamk_f32 v156, v42, 0xbf1a4643, v151
	v_fma_f32 v151, 0xbf1a4643, v42, -v151
	v_dual_add_f32 v40, v43, v40 :: v_dual_add_f32 v147, v130, v147
	v_add_f32_e32 v37, v130, v37
	ds_store_2addr_b32 v140, v11, v24 offset0:14 offset1:21
	ds_store_2addr_b32 v140, v25, v28 offset0:28 offset1:35
	;; [unrolled: 1-line block ×4, first 2 shown]
	v_add_f32_e32 v41, v151, v41
	v_fma_f32 v151, 0xbf7ba420, v42, -v155
	v_add_f32_e32 v37, v153, v37
	s_delay_alu instid0(VALU_DEP_2) | instskip(SKIP_2) | instid1(VALU_DEP_3)
	v_dual_mul_f32 v153, 0x3f763a35, v150 :: v_dual_add_f32 v44, v151, v44
	v_add_f32_e32 v145, v130, v145
	v_fmamk_f32 v157, v42, 0xbf7ba420, v155
	v_fma_f32 v151, 0xbe8c1d8e, v42, -v153
	s_delay_alu instid0(VALU_DEP_3) | instskip(NEXT) | instid1(VALU_DEP_3)
	v_add_f32_e32 v43, v156, v145
	v_add_f32_e32 v145, v157, v147
	v_mul_f32_e32 v147, 0x3f06c442, v150
	v_dual_fmamk_f32 v156, v42, 0xbe8c1d8e, v153 :: v_dual_add_f32 v157, v79, v75
	s_delay_alu instid0(VALU_DEP_2) | instskip(SKIP_1) | instid1(VALU_DEP_2)
	v_fmamk_f32 v155, v42, 0xbf59a7d5, v147
	v_fma_f32 v147, 0xbf59a7d5, v42, -v147
	v_add_f32_e32 v148, v155, v148
	s_delay_alu instid0(VALU_DEP_2) | instskip(SKIP_2) | instid1(VALU_DEP_2)
	v_add_f32_e32 v146, v147, v146
	v_mul_f32_e32 v147, 0x3f65296c, v150
	v_dual_add_f32 v149, v151, v149 :: v_dual_mul_f32 v150, 0x3eb8f4ab, v150
	v_fmamk_f32 v153, v42, 0x3ee437d1, v147
	v_fma_f32 v147, 0x3ee437d1, v42, -v147
	s_delay_alu instid0(VALU_DEP_1) | instskip(NEXT) | instid1(VALU_DEP_3)
	v_dual_add_f32 v144, v147, v144 :: v_dual_add_f32 v147, v130, v154
	v_dual_add_f32 v154, v90, v98 :: v_dual_add_f32 v151, v153, v152
	v_dual_sub_f32 v152, v92, v46 :: v_dual_add_f32 v35, v130, v35
	v_fmamk_f32 v153, v42, 0x3f6eb680, v150
	v_fma_f32 v42, 0x3f6eb680, v42, -v150
	v_add_f32_e32 v130, v130, v95
	s_delay_alu instid0(VALU_DEP_4) | instskip(SKIP_1) | instid1(VALU_DEP_4)
	v_dual_mul_f32 v150, 0xbf4c4adb, v152 :: v_dual_add_f32 v35, v156, v35
	v_mul_f32_e32 v155, 0xbf65296c, v152
	v_add_f32_e32 v36, v42, v36
	v_mul_f32_e32 v42, 0x3e3c28d5, v152
	s_delay_alu instid0(VALU_DEP_4) | instskip(SKIP_2) | instid1(VALU_DEP_2)
	v_fmamk_f32 v156, v154, 0xbf1a4643, v150
	v_fma_f32 v150, 0xbf1a4643, v154, -v150
	v_add_f32_e32 v130, v130, v94
	v_dual_add_f32 v40, v156, v40 :: v_dual_add_f32 v37, v150, v37
	v_mul_f32_e32 v150, 0x3f2c7751, v152
	s_delay_alu instid0(VALU_DEP_3) | instskip(NEXT) | instid1(VALU_DEP_2)
	v_add_f32_e32 v130, v130, v90
	v_fmamk_f32 v156, v154, 0x3f3d2fb0, v150
	v_fma_f32 v150, 0x3f3d2fb0, v154, -v150
	s_delay_alu instid0(VALU_DEP_3) | instskip(NEXT) | instid1(VALU_DEP_3)
	v_add_f32_e32 v130, v130, v86
	v_add_f32_e32 v148, v156, v148
	s_delay_alu instid0(VALU_DEP_3) | instskip(SKIP_4) | instid1(VALU_DEP_4)
	v_add_f32_e32 v146, v150, v146
	v_dual_mul_f32 v150, 0xbf06c442, v152 :: v_dual_add_f32 v147, v153, v147
	v_fmamk_f32 v153, v154, 0x3ee437d1, v155
	v_fma_f32 v155, 0x3ee437d1, v154, -v155
	v_add_f32_e32 v130, v130, v84
	v_fmamk_f32 v156, v154, 0xbf59a7d5, v150
	v_fma_f32 v150, 0xbf59a7d5, v154, -v150
	s_delay_alu instid0(VALU_DEP_4) | instskip(SKIP_4) | instid1(VALU_DEP_4)
	v_dual_add_f32 v38, v153, v38 :: v_dual_add_f32 v39, v155, v39
	v_fmamk_f32 v153, v154, 0xbf7ba420, v42
	v_mul_f32_e32 v155, 0x3f763a35, v152
	v_fma_f32 v42, 0xbf7ba420, v154, -v42
	v_dual_add_f32 v36, v150, v36 :: v_dual_add_f32 v147, v156, v147
	v_add_f32_e32 v43, v153, v43
	s_delay_alu instid0(VALU_DEP_4) | instskip(NEXT) | instid1(VALU_DEP_4)
	v_fmamk_f32 v153, v154, 0xbe8c1d8e, v155
	v_dual_add_f32 v41, v42, v41 :: v_dual_mul_f32 v42, 0xbeb8f4ab, v152
	v_fma_f32 v155, 0xbe8c1d8e, v154, -v155
	s_delay_alu instid0(VALU_DEP_3) | instskip(NEXT) | instid1(VALU_DEP_2)
	v_dual_add_f32 v130, v130, v80 :: v_dual_add_f32 v145, v153, v145
	v_dual_fmamk_f32 v153, v154, 0x3f6eb680, v42 :: v_dual_add_f32 v44, v155, v44
	v_mul_f32_e32 v155, 0xbf7ee86f, v152
	v_fma_f32 v42, 0x3f6eb680, v154, -v42
	s_delay_alu instid0(VALU_DEP_4) | instskip(NEXT) | instid1(VALU_DEP_3)
	v_add_f32_e32 v130, v130, v79
	v_dual_add_f32 v35, v153, v35 :: v_dual_fmamk_f32 v152, v154, 0x3dbcf732, v155
	v_fma_f32 v153, 0x3dbcf732, v154, -v155
	s_delay_alu instid0(VALU_DEP_4) | instskip(SKIP_2) | instid1(VALU_DEP_4)
	v_add_f32_e32 v42, v42, v149
	v_add_f32_e32 v149, v86, v89
	v_sub_f32_e32 v155, v91, v45
	v_dual_add_f32 v151, v152, v151 :: v_dual_add_f32 v144, v153, v144
	s_delay_alu instid0(VALU_DEP_2) | instskip(NEXT) | instid1(VALU_DEP_1)
	v_mul_f32_e32 v152, 0xbe3c28d5, v155
	v_fmamk_f32 v156, v149, 0xbf7ba420, v152
	v_fma_f32 v152, 0xbf7ba420, v149, -v152
	s_delay_alu instid0(VALU_DEP_2) | instskip(NEXT) | instid1(VALU_DEP_2)
	v_add_f32_e32 v40, v156, v40
	v_dual_add_f32 v37, v152, v37 :: v_dual_mul_f32 v152, 0xbf65296c, v155
	s_delay_alu instid0(VALU_DEP_1) | instskip(SKIP_1) | instid1(VALU_DEP_2)
	v_fmamk_f32 v156, v149, 0x3ee437d1, v152
	v_fma_f32 v152, 0x3ee437d1, v149, -v152
	v_add_f32_e32 v148, v156, v148
	s_delay_alu instid0(VALU_DEP_2) | instskip(SKIP_1) | instid1(VALU_DEP_1)
	v_add_f32_e32 v146, v152, v146
	v_mul_f32_e32 v152, 0x3f2c7751, v155
	v_fmamk_f32 v156, v149, 0x3f3d2fb0, v152
	v_mul_f32_e32 v154, 0xbf7ee86f, v155
	v_mul_f32_e32 v150, 0x3f763a35, v155
	s_delay_alu instid0(VALU_DEP_2) | instskip(SKIP_1) | instid1(VALU_DEP_1)
	v_fmamk_f32 v153, v149, 0x3dbcf732, v154
	v_fma_f32 v154, 0x3dbcf732, v149, -v154
	v_dual_add_f32 v38, v153, v38 :: v_dual_add_f32 v39, v154, v39
	s_delay_alu instid0(VALU_DEP_4) | instskip(SKIP_2) | instid1(VALU_DEP_3)
	v_fmamk_f32 v153, v149, 0xbe8c1d8e, v150
	v_mul_f32_e32 v154, 0x3eb8f4ab, v155
	v_fma_f32 v150, 0xbe8c1d8e, v149, -v150
	v_add_f32_e32 v43, v153, v43
	s_delay_alu instid0(VALU_DEP_3) | instskip(NEXT) | instid1(VALU_DEP_3)
	v_fmamk_f32 v153, v149, 0x3f6eb680, v154
	v_dual_add_f32 v41, v150, v41 :: v_dual_mul_f32 v150, 0xbf06c442, v155
	v_fma_f32 v154, 0x3f6eb680, v149, -v154
	s_delay_alu instid0(VALU_DEP_1) | instskip(SKIP_4) | instid1(VALU_DEP_1)
	v_add_f32_e32 v44, v154, v44
	v_dual_mul_f32 v154, 0x3f4c4adb, v155 :: v_dual_sub_f32 v155, v85, v88
	v_add_f32_e32 v145, v153, v145
	v_fmamk_f32 v153, v149, 0xbf59a7d5, v150
	v_fma_f32 v150, 0xbf59a7d5, v149, -v150
	v_add_f32_e32 v42, v150, v42
	v_add_f32_e32 v150, v84, v87
	s_delay_alu instid0(VALU_DEP_4) | instskip(SKIP_4) | instid1(VALU_DEP_3)
	v_add_f32_e32 v35, v153, v35
	v_fmamk_f32 v153, v149, 0xbf1a4643, v154
	v_fma_f32 v154, 0xbf1a4643, v149, -v154
	v_fma_f32 v149, 0x3f3d2fb0, v149, -v152
	v_mul_f32_e32 v152, 0xbf763a35, v155
	v_dual_add_f32 v147, v156, v147 :: v_dual_add_f32 v144, v154, v144
	s_delay_alu instid0(VALU_DEP_3) | instskip(NEXT) | instid1(VALU_DEP_3)
	v_add_f32_e32 v36, v149, v36
	v_fmamk_f32 v154, v150, 0xbe8c1d8e, v152
	v_fma_f32 v152, 0xbe8c1d8e, v150, -v152
	s_delay_alu instid0(VALU_DEP_2) | instskip(SKIP_2) | instid1(VALU_DEP_4)
	v_dual_mul_f32 v149, 0x3f2c7751, v155 :: v_dual_add_f32 v38, v154, v38
	v_add_f32_e32 v151, v153, v151
	v_mul_f32_e32 v153, 0x3f06c442, v155
	v_add_f32_e32 v39, v152, v39
	s_delay_alu instid0(VALU_DEP_2) | instskip(SKIP_1) | instid1(VALU_DEP_2)
	v_fma_f32 v152, 0xbf59a7d5, v150, -v153
	v_fmamk_f32 v156, v150, 0xbf59a7d5, v153
	v_dual_mul_f32 v154, 0xbf65296c, v155 :: v_dual_add_f32 v37, v152, v37
	v_mul_f32_e32 v152, 0xbe3c28d5, v155
	s_delay_alu instid0(VALU_DEP_3) | instskip(NEXT) | instid1(VALU_DEP_2)
	v_add_f32_e32 v40, v156, v40
	v_fmamk_f32 v156, v150, 0xbf7ba420, v152
	s_delay_alu instid0(VALU_DEP_1) | instskip(SKIP_1) | instid1(VALU_DEP_1)
	v_dual_add_f32 v148, v156, v148 :: v_dual_fmamk_f32 v153, v150, 0x3f3d2fb0, v149
	v_fma_f32 v149, 0x3f3d2fb0, v150, -v149
	v_add_f32_e32 v41, v149, v41
	v_fma_f32 v152, 0xbf7ba420, v150, -v152
	s_delay_alu instid0(VALU_DEP_1) | instskip(SKIP_3) | instid1(VALU_DEP_2)
	v_dual_mul_f32 v149, 0x3f7ee86f, v155 :: v_dual_add_f32 v146, v152, v146
	v_add_f32_e32 v43, v153, v43
	v_fmamk_f32 v153, v150, 0x3ee437d1, v154
	v_fma_f32 v154, 0x3ee437d1, v150, -v154
	v_dual_mul_f32 v152, 0xbf4c4adb, v155 :: v_dual_add_f32 v145, v153, v145
	v_fmamk_f32 v153, v150, 0x3dbcf732, v149
	s_delay_alu instid0(VALU_DEP_3) | instskip(SKIP_2) | instid1(VALU_DEP_1)
	v_add_f32_e32 v44, v154, v44
	v_mul_f32_e32 v154, 0xbeb8f4ab, v155
	v_fma_f32 v149, 0x3dbcf732, v150, -v149
	v_add_f32_e32 v42, v149, v42
	v_dual_add_f32 v149, v80, v82 :: v_dual_fmamk_f32 v156, v150, 0xbf1a4643, v152
	v_add_f32_e32 v35, v153, v35
	v_fmamk_f32 v153, v150, 0x3f6eb680, v154
	v_fma_f32 v154, 0x3f6eb680, v150, -v154
	v_fma_f32 v150, 0xbf1a4643, v150, -v152
	s_delay_alu instid0(VALU_DEP_2) | instskip(NEXT) | instid1(VALU_DEP_2)
	v_dual_add_f32 v144, v154, v144 :: v_dual_sub_f32 v155, v81, v83
	v_add_f32_e32 v36, v150, v36
	s_delay_alu instid0(VALU_DEP_2) | instskip(NEXT) | instid1(VALU_DEP_1)
	v_mul_f32_e32 v152, 0xbf4c4adb, v155
	v_fmamk_f32 v154, v149, 0xbf1a4643, v152
	v_fma_f32 v152, 0xbf1a4643, v149, -v152
	s_delay_alu instid0(VALU_DEP_2) | instskip(SKIP_2) | instid1(VALU_DEP_4)
	v_dual_add_f32 v38, v154, v38 :: v_dual_add_f32 v151, v153, v151
	v_mul_f32_e32 v153, 0x3f763a35, v155
	v_mul_f32_e32 v154, 0xbf06c442, v155
	v_add_f32_e32 v39, v152, v39
	s_delay_alu instid0(VALU_DEP_3) | instskip(SKIP_2) | instid1(VALU_DEP_3)
	v_dual_add_f32 v147, v156, v147 :: v_dual_fmamk_f32 v156, v149, 0xbe8c1d8e, v153
	v_fma_f32 v152, 0xbe8c1d8e, v149, -v153
	v_mul_f32_e32 v150, 0xbeb8f4ab, v155
	v_add_f32_e32 v40, v156, v40
	s_delay_alu instid0(VALU_DEP_3) | instskip(NEXT) | instid1(VALU_DEP_3)
	v_add_f32_e32 v37, v152, v37
	v_fmamk_f32 v153, v149, 0x3f6eb680, v150
	v_fma_f32 v150, 0x3f6eb680, v149, -v150
	s_delay_alu instid0(VALU_DEP_1) | instskip(SKIP_1) | instid1(VALU_DEP_2)
	v_dual_add_f32 v41, v150, v41 :: v_dual_mul_f32 v152, 0x3f7ee86f, v155
	v_fmamk_f32 v150, v149, 0xbf59a7d5, v154
	v_fmamk_f32 v156, v149, 0x3dbcf732, v152
	v_fma_f32 v152, 0x3dbcf732, v149, -v152
	s_delay_alu instid0(VALU_DEP_3) | instskip(SKIP_1) | instid1(VALU_DEP_4)
	v_add_f32_e32 v145, v150, v145
	v_fma_f32 v154, 0xbf59a7d5, v149, -v154
	v_add_f32_e32 v148, v156, v148
	s_delay_alu instid0(VALU_DEP_4) | instskip(NEXT) | instid1(VALU_DEP_3)
	v_dual_add_f32 v146, v152, v146 :: v_dual_add_f32 v43, v153, v43
	v_dual_add_f32 v44, v154, v44 :: v_dual_mul_f32 v153, 0xbf2c7751, v155
	v_mul_f32_e32 v152, 0xbe3c28d5, v155
	v_sub_f32_e32 v154, v76, v77
	s_delay_alu instid0(VALU_DEP_3) | instskip(SKIP_1) | instid1(VALU_DEP_2)
	v_fmamk_f32 v150, v149, 0x3f3d2fb0, v153
	v_fma_f32 v153, 0x3f3d2fb0, v149, -v153
	v_dual_mul_f32 v158, 0xbf06c442, v154 :: v_dual_add_f32 v35, v150, v35
	v_mul_f32_e32 v150, 0x3f65296c, v155
	v_fmamk_f32 v155, v149, 0xbf7ba420, v152
	v_fma_f32 v152, 0xbf7ba420, v149, -v152
	v_add_f32_e32 v42, v153, v42
	v_fma_f32 v153, 0xbf59a7d5, v157, -v158
	v_fmamk_f32 v156, v149, 0x3ee437d1, v150
	v_fma_f32 v149, 0x3ee437d1, v149, -v150
	v_add_f32_e32 v144, v152, v144
	v_mul_f32_e32 v152, 0x3f65296c, v154
	v_dual_add_f32 v150, v155, v151 :: v_dual_fmamk_f32 v151, v157, 0xbf59a7d5, v158
	s_delay_alu instid0(VALU_DEP_4) | instskip(SKIP_1) | instid1(VALU_DEP_3)
	v_dual_add_f32 v36, v149, v36 :: v_dual_mul_f32 v149, 0xbf7ee86f, v154
	v_add_f32_e32 v147, v156, v147
	v_dual_add_f32 v39, v153, v39 :: v_dual_add_f32 v38, v151, v38
	v_fmamk_f32 v151, v157, 0x3ee437d1, v152
	v_fma_f32 v152, 0x3ee437d1, v157, -v152
	v_fmamk_f32 v155, v157, 0x3dbcf732, v149
	v_mul_f32_e32 v153, 0x3f4c4adb, v154
	v_fma_f32 v149, 0x3dbcf732, v157, -v149
	s_delay_alu instid0(VALU_DEP_4) | instskip(SKIP_1) | instid1(VALU_DEP_4)
	v_dual_add_f32 v40, v151, v40 :: v_dual_add_f32 v37, v152, v37
	v_mul_f32_e32 v152, 0xbeb8f4ab, v154
	v_fmamk_f32 v151, v157, 0xbf1a4643, v153
	s_delay_alu instid0(VALU_DEP_4) | instskip(SKIP_1) | instid1(VALU_DEP_4)
	v_add_f32_e32 v41, v149, v41
	v_fma_f32 v149, 0xbf1a4643, v157, -v153
	v_fmamk_f32 v153, v157, 0x3f6eb680, v152
	v_fma_f32 v152, 0x3f6eb680, v157, -v152
	s_delay_alu instid0(VALU_DEP_3) | instskip(NEXT) | instid1(VALU_DEP_3)
	v_add_f32_e32 v44, v149, v44
	v_add_f32_e32 v148, v153, v148
	s_delay_alu instid0(VALU_DEP_3) | instskip(SKIP_1) | instid1(VALU_DEP_1)
	v_add_f32_e32 v146, v152, v146
	v_mul_f32_e32 v152, 0x3f2c7751, v154
	v_fmamk_f32 v153, v157, 0x3f3d2fb0, v152
	v_fma_f32 v152, 0x3f3d2fb0, v157, -v152
	s_delay_alu instid0(VALU_DEP_2) | instskip(NEXT) | instid1(VALU_DEP_2)
	v_add_f32_e32 v150, v153, v150
	v_dual_add_f32 v144, v152, v144 :: v_dual_add_f32 v145, v151, v145
	v_mul_f32_e32 v151, 0xbe3c28d5, v154
	s_delay_alu instid0(VALU_DEP_1) | instskip(SKIP_1) | instid1(VALU_DEP_1)
	v_fmamk_f32 v149, v157, 0xbf7ba420, v151
	v_fma_f32 v151, 0xbf7ba420, v157, -v151
	v_dual_add_f32 v42, v151, v42 :: v_dual_add_f32 v151, v78, v72
	s_delay_alu instid0(VALU_DEP_3) | instskip(NEXT) | instid1(VALU_DEP_1)
	v_dual_add_f32 v130, v130, v78 :: v_dual_add_f32 v35, v149, v35
	v_dual_mul_f32 v149, 0xbf763a35, v154 :: v_dual_add_f32 v130, v130, v72
	s_delay_alu instid0(VALU_DEP_1) | instskip(SKIP_2) | instid1(VALU_DEP_4)
	v_dual_add_f32 v43, v155, v43 :: v_dual_fmamk_f32 v154, v157, 0xbe8c1d8e, v149
	v_sub_f32_e32 v155, v73, v74
	v_fma_f32 v149, 0xbe8c1d8e, v157, -v149
	v_add_f32_e32 v130, v130, v75
	s_delay_alu instid0(VALU_DEP_4) | instskip(NEXT) | instid1(VALU_DEP_3)
	v_add_f32_e32 v147, v154, v147
	v_dual_mul_f32 v153, 0xbe3c28d5, v155 :: v_dual_add_f32 v36, v149, v36
	s_delay_alu instid0(VALU_DEP_3) | instskip(NEXT) | instid1(VALU_DEP_2)
	v_add_f32_e32 v130, v130, v82
	v_fmamk_f32 v154, v151, 0xbf7ba420, v153
	v_fma_f32 v153, 0xbf7ba420, v151, -v153
	s_delay_alu instid0(VALU_DEP_3) | instskip(NEXT) | instid1(VALU_DEP_2)
	v_add_f32_e32 v130, v130, v87
	v_dual_add_f32 v38, v154, v38 :: v_dual_add_f32 v39, v153, v39
	s_delay_alu instid0(VALU_DEP_2) | instskip(NEXT) | instid1(VALU_DEP_1)
	v_dual_mul_f32 v153, 0xbf06c442, v155 :: v_dual_add_f32 v130, v130, v89
	v_fmamk_f32 v154, v151, 0xbf59a7d5, v153
	v_mul_f32_e32 v152, 0x3eb8f4ab, v155
	s_delay_alu instid0(VALU_DEP_1) | instskip(NEXT) | instid1(VALU_DEP_1)
	v_fmamk_f32 v149, v151, 0x3f6eb680, v152
	v_add_f32_e32 v40, v149, v40
	v_fma_f32 v149, 0x3f6eb680, v151, -v152
	v_fma_f32 v153, 0xbf59a7d5, v151, -v153
	s_delay_alu instid0(VALU_DEP_2) | instskip(NEXT) | instid1(VALU_DEP_2)
	v_dual_mul_f32 v152, 0x3f2c7751, v155 :: v_dual_add_f32 v37, v149, v37
	v_add_f32_e32 v41, v153, v41
	s_delay_alu instid0(VALU_DEP_2) | instskip(NEXT) | instid1(VALU_DEP_1)
	v_fmamk_f32 v149, v151, 0x3f3d2fb0, v152
	v_add_f32_e32 v145, v149, v145
	v_fma_f32 v149, 0x3f3d2fb0, v151, -v152
	v_mul_f32_e32 v152, 0x3f65296c, v155
	s_delay_alu instid0(VALU_DEP_2) | instskip(NEXT) | instid1(VALU_DEP_2)
	v_dual_mul_f32 v153, 0xbf4c4adb, v155 :: v_dual_add_f32 v44, v149, v44
	v_fmamk_f32 v149, v151, 0x3ee437d1, v152
	s_delay_alu instid0(VALU_DEP_2) | instskip(SKIP_2) | instid1(VALU_DEP_4)
	v_dual_add_f32 v43, v154, v43 :: v_dual_fmamk_f32 v154, v151, 0xbf1a4643, v153
	v_fma_f32 v153, 0xbf1a4643, v151, -v153
	v_fma_f32 v152, 0x3ee437d1, v151, -v152
	v_add_f32_e32 v35, v149, v35
	v_dual_mul_f32 v149, 0x3f7ee86f, v155 :: v_dual_add_f32 v130, v130, v98
	s_delay_alu instid0(VALU_DEP_4) | instskip(NEXT) | instid1(VALU_DEP_4)
	v_add_f32_e32 v146, v153, v146
	v_add_f32_e32 v42, v152, v42
	v_dual_add_f32 v148, v154, v148 :: v_dual_mul_f32 v153, 0xbf763a35, v155
	s_delay_alu instid0(VALU_DEP_4) | instskip(SKIP_1) | instid1(VALU_DEP_3)
	v_dual_fmamk_f32 v155, v151, 0x3dbcf732, v149 :: v_dual_add_f32 v130, v130, v99
	v_fma_f32 v149, 0x3dbcf732, v151, -v149
	v_fmamk_f32 v154, v151, 0xbe8c1d8e, v153
	v_fma_f32 v153, 0xbe8c1d8e, v151, -v153
	s_delay_alu instid0(VALU_DEP_4) | instskip(NEXT) | instid1(VALU_DEP_4)
	v_dual_add_f32 v130, v130, v101 :: v_dual_add_f32 v147, v155, v147
	v_add_f32_e32 v36, v149, v36
	s_delay_alu instid0(VALU_DEP_4) | instskip(NEXT) | instid1(VALU_DEP_4)
	v_add_f32_e32 v150, v154, v150
	v_add_f32_e32 v144, v153, v144
	ds_store_2addr_b32 v140, v32, v30 offset0:70 offset1:77
	ds_store_2addr_b32 v140, v27, v26 offset0:84 offset1:91
	;; [unrolled: 1-line block ×3, first 2 shown]
	ds_store_b32 v140, v8 offset:448
	ds_store_2addr_b32 v141, v130, v38 offset1:7
	ds_store_2addr_b32 v141, v40, v43 offset0:14 offset1:21
	ds_store_2addr_b32 v141, v145, v148 offset0:28 offset1:35
	;; [unrolled: 1-line block ×4, first 2 shown]
	v_lshlrev_b32_e32 v130, 2, v143
	ds_store_2addr_b32 v141, v144, v42 offset0:70 offset1:77
	ds_store_2addr_b32 v141, v146, v44 offset0:84 offset1:91
	;; [unrolled: 1-line block ×3, first 2 shown]
	ds_store_b32 v141, v39 offset:448
	s_and_saveexec_b32 s1, s0
	s_cbranch_execz .LBB0_18
; %bb.17:
	v_dual_sub_f32 v28, v71, v65 :: v_dual_add_f32 v23, v66, v68
	v_dual_add_f32 v26, v67, v70 :: v_dual_sub_f32 v31, v69, v13
	s_delay_alu instid0(VALU_DEP_2) | instskip(SKIP_1) | instid1(VALU_DEP_3)
	v_dual_add_f32 v8, v62, v63 :: v_dual_mul_f32 v35, 0xbe3c28d5, v28
	v_dual_sub_f32 v32, v64, v12 :: v_dual_sub_f32 v29, v15, v21
	v_dual_add_f32 v9, v60, v61 :: v_dual_mul_f32 v36, 0x3eb8f4ab, v31
	s_delay_alu instid0(VALU_DEP_3) | instskip(NEXT) | instid1(VALU_DEP_3)
	v_fma_f32 v24, 0xbf7ba420, v26, -v35
	v_mul_f32_e32 v37, 0xbf06c442, v32
	v_dual_add_f32 v11, v59, v53 :: v_dual_sub_f32 v30, v10, v14
	s_delay_alu instid0(VALU_DEP_4) | instskip(NEXT) | instid1(VALU_DEP_4)
	v_fma_f32 v25, 0x3f6eb680, v23, -v36
	v_dual_add_f32 v27, v2, v24 :: v_dual_mul_f32 v38, 0x3f2c7751, v29
	v_dual_add_f32 v24, v57, v58 :: v_dual_sub_f32 v33, v6, v7
	v_sub_f32_e32 v34, v4, v5
	v_fma_f32 v39, 0xbf59a7d5, v8, -v37
	s_delay_alu instid0(VALU_DEP_4) | instskip(SKIP_2) | instid1(VALU_DEP_3)
	v_dual_add_f32 v25, v25, v27 :: v_dual_mul_f32 v40, 0xbf4c4adb, v30
	v_fmac_f32_e32 v35, 0xbf7ba420, v26
	v_dual_add_f32 v27, v55, v56 :: v_dual_mul_f32 v42, 0x3f65296c, v33
	v_dual_add_f32 v39, v39, v25 :: v_dual_fmac_f32 v36, 0x3f6eb680, v23
	s_delay_alu instid0(VALU_DEP_3) | instskip(SKIP_1) | instid1(VALU_DEP_4)
	v_add_f32_e32 v35, v2, v35
	v_fmac_f32_e32 v37, 0xbf59a7d5, v8
	v_fma_f32 v44, 0x3ee437d1, v24, -v42
	v_fmac_f32_e32 v42, 0x3ee437d1, v24
	v_fma_f32 v41, 0x3f3d2fb0, v9, -v38
	v_add_f32_e32 v35, v36, v35
	v_dual_add_f32 v25, v54, v52 :: v_dual_fmac_f32 v38, 0x3f3d2fb0, v9
	v_fma_f32 v43, 0xbf1a4643, v11, -v40
	v_sub_f32_e32 v36, v1, v3
	s_delay_alu instid0(VALU_DEP_4)
	v_add_f32_e32 v35, v37, v35
	v_add_f32_e32 v39, v41, v39
	v_fmac_f32_e32 v40, 0xbf1a4643, v11
	v_mul_f32_e32 v144, 0x3f4c4adb, v29
	v_mul_f32_e32 v151, 0x3e3c28d5, v32
	v_dual_add_f32 v35, v38, v35 :: v_dual_mul_f32 v38, 0x3f7ee86f, v36
	v_dual_add_f32 v39, v43, v39 :: v_dual_mul_f32 v152, 0xbf4c4adb, v32
	s_delay_alu instid0(VALU_DEP_2) | instskip(SKIP_1) | instid1(VALU_DEP_3)
	v_dual_mul_f32 v146, 0xbeb8f4ab, v32 :: v_dual_add_f32 v35, v40, v35
	v_mul_f32_e32 v41, 0xbf763a35, v34
	v_add_f32_e32 v39, v44, v39
	v_mul_f32_e32 v44, 0x3f65296c, v31
	v_fma_f32 v40, 0x3dbcf732, v25, -v38
	v_add_f32_e32 v42, v42, v35
	v_fma_f32 v142, 0xbe8c1d8e, v27, -v41
	v_fmac_f32_e32 v41, 0xbe8c1d8e, v27
	s_delay_alu instid0(VALU_DEP_2) | instskip(SKIP_1) | instid1(VALU_DEP_3)
	v_dual_fmac_f32 v38, 0x3dbcf732, v25 :: v_dual_add_f32 v39, v142, v39
	v_fma_f32 v142, 0x3ee437d1, v23, -v44
	v_dual_add_f32 v41, v41, v42 :: v_dual_fmac_f32 v44, 0x3ee437d1, v23
	v_mul_f32_e32 v43, 0xbf06c442, v28
	s_delay_alu instid0(VALU_DEP_4)
	v_add_f32_e32 v35, v40, v39
	v_fma_f32 v39, 0xbf1a4643, v9, -v144
	v_fmac_f32_e32 v144, 0xbf1a4643, v9
	v_mul_f32_e32 v143, 0xbf7ee86f, v32
	v_fma_f32 v37, 0xbf59a7d5, v26, -v43
	v_fmac_f32_e32 v43, 0xbf59a7d5, v26
	s_delay_alu instid0(VALU_DEP_2) | instskip(NEXT) | instid1(VALU_DEP_1)
	v_dual_mul_f32 v40, 0xbeb8f4ab, v30 :: v_dual_add_f32 v37, v2, v37
	v_fma_f32 v42, 0x3f6eb680, v11, -v40
	s_delay_alu instid0(VALU_DEP_2) | instskip(SKIP_1) | instid1(VALU_DEP_1)
	v_dual_fmac_f32 v40, 0x3f6eb680, v11 :: v_dual_add_f32 v37, v142, v37
	v_fma_f32 v142, 0x3dbcf732, v8, -v143
	v_add_f32_e32 v37, v142, v37
	v_mul_f32_e32 v142, 0xbe3c28d5, v33
	s_delay_alu instid0(VALU_DEP_2) | instskip(SKIP_2) | instid1(VALU_DEP_4)
	v_add_f32_e32 v39, v39, v37
	v_add_f32_e32 v37, v38, v41
	;; [unrolled: 1-line block ×3, first 2 shown]
	v_fma_f32 v41, 0xbf7ba420, v24, -v142
	v_fmac_f32_e32 v142, 0xbf7ba420, v24
	v_fmac_f32_e32 v143, 0x3dbcf732, v8
	s_delay_alu instid0(VALU_DEP_4) | instskip(SKIP_2) | instid1(VALU_DEP_3)
	v_dual_add_f32 v39, v42, v39 :: v_dual_add_f32 v38, v44, v38
	v_mul_f32_e32 v42, 0xbf4c4adb, v28
	v_mul_f32_e32 v44, 0x3f763a35, v31
	v_add_f32_e32 v38, v143, v38
	s_delay_alu instid0(VALU_DEP_2) | instskip(SKIP_1) | instid1(VALU_DEP_3)
	v_fma_f32 v143, 0xbe8c1d8e, v23, -v44
	v_fmac_f32_e32 v44, 0xbe8c1d8e, v23
	v_add_f32_e32 v38, v144, v38
	v_dual_mul_f32 v144, 0xbf06c442, v29 :: v_dual_add_f32 v39, v41, v39
	v_fma_f32 v41, 0xbf1a4643, v26, -v42
	v_fmac_f32_e32 v42, 0xbf1a4643, v26
	s_delay_alu instid0(VALU_DEP_2) | instskip(NEXT) | instid1(VALU_DEP_2)
	v_dual_add_f32 v38, v40, v38 :: v_dual_add_f32 v41, v2, v41
	v_add_f32_e32 v42, v2, v42
	s_delay_alu instid0(VALU_DEP_2) | instskip(SKIP_1) | instid1(VALU_DEP_4)
	v_add_f32_e32 v38, v142, v38
	v_mul_f32_e32 v142, 0xbf2c7751, v33
	v_add_f32_e32 v41, v143, v41
	v_fma_f32 v143, 0x3f6eb680, v8, -v146
	v_add_f32_e32 v42, v44, v42
	v_fmac_f32_e32 v146, 0x3f6eb680, v8
	s_delay_alu instid0(VALU_DEP_3) | instskip(SKIP_2) | instid1(VALU_DEP_4)
	v_add_f32_e32 v40, v143, v41
	v_fma_f32 v41, 0xbf59a7d5, v9, -v144
	v_mul_f32_e32 v43, 0x3f2c7751, v34
	v_add_f32_e32 v42, v146, v42
	s_delay_alu instid0(VALU_DEP_3) | instskip(NEXT) | instid1(VALU_DEP_3)
	v_dual_add_f32 v40, v41, v40 :: v_dual_mul_f32 v143, 0x3f7ee86f, v30
	v_fma_f32 v145, 0x3f3d2fb0, v27, -v43
	s_delay_alu instid0(VALU_DEP_2) | instskip(NEXT) | instid1(VALU_DEP_1)
	v_fma_f32 v41, 0x3dbcf732, v11, -v143
	v_add_f32_e32 v40, v41, v40
	v_fma_f32 v41, 0x3f3d2fb0, v24, -v142
	v_fmac_f32_e32 v43, 0x3f3d2fb0, v27
	s_delay_alu instid0(VALU_DEP_2) | instskip(NEXT) | instid1(VALU_DEP_2)
	v_dual_fmac_f32 v143, 0x3dbcf732, v11 :: v_dual_add_f32 v40, v41, v40
	v_dual_add_f32 v39, v145, v39 :: v_dual_add_f32 v38, v43, v38
	v_mul_f32_e32 v145, 0xbf763a35, v36
	v_mul_f32_e32 v43, 0xbe3c28d5, v34
	s_delay_alu instid0(VALU_DEP_2) | instskip(SKIP_1) | instid1(VALU_DEP_3)
	v_fma_f32 v147, 0xbe8c1d8e, v25, -v145
	v_fmac_f32_e32 v145, 0xbe8c1d8e, v25
	v_fma_f32 v41, 0xbf7ba420, v27, -v43
	s_delay_alu instid0(VALU_DEP_3) | instskip(NEXT) | instid1(VALU_DEP_3)
	v_add_f32_e32 v39, v147, v39
	v_dual_mul_f32 v147, 0xbf763a35, v28 :: v_dual_add_f32 v38, v145, v38
	s_delay_alu instid0(VALU_DEP_3) | instskip(SKIP_2) | instid1(VALU_DEP_4)
	v_add_f32_e32 v40, v41, v40
	v_mul_f32_e32 v145, 0x3f65296c, v36
	v_fmac_f32_e32 v43, 0xbf7ba420, v27
	v_fma_f32 v41, 0xbe8c1d8e, v26, -v147
	v_mul_f32_e32 v44, 0x3f06c442, v31
	v_fmac_f32_e32 v147, 0xbe8c1d8e, v26
	v_fmac_f32_e32 v144, 0xbf59a7d5, v9
	s_delay_alu instid0(VALU_DEP_4) | instskip(NEXT) | instid1(VALU_DEP_4)
	v_add_f32_e32 v41, v2, v41
	v_fma_f32 v146, 0xbf59a7d5, v23, -v44
	v_mul_f32_e32 v148, 0x3f2c7751, v32
	s_delay_alu instid0(VALU_DEP_4)
	v_add_f32_e32 v42, v144, v42
	v_fma_f32 v144, 0x3ee437d1, v25, -v145
	v_mul_f32_e32 v149, 0xbf65296c, v29
	v_add_f32_e32 v41, v146, v41
	v_fma_f32 v146, 0x3f3d2fb0, v8, -v148
	v_add_f32_e32 v42, v143, v42
	v_fmac_f32_e32 v142, 0x3f3d2fb0, v24
	v_add_f32_e32 v40, v144, v40
	v_fma_f32 v143, 0x3ee437d1, v9, -v149
	v_dual_add_f32 v41, v146, v41 :: v_dual_mul_f32 v144, 0xbe3c28d5, v30
	s_delay_alu instid0(VALU_DEP_4) | instskip(SKIP_1) | instid1(VALU_DEP_3)
	v_dual_add_f32 v42, v142, v42 :: v_dual_fmac_f32 v145, 0x3ee437d1, v25
	v_fmac_f32_e32 v149, 0x3ee437d1, v9
	v_add_f32_e32 v41, v143, v41
	s_delay_alu instid0(VALU_DEP_4) | instskip(NEXT) | instid1(VALU_DEP_4)
	v_fma_f32 v142, 0xbf7ba420, v11, -v144
	v_dual_mul_f32 v143, 0x3f7ee86f, v33 :: v_dual_add_f32 v42, v43, v42
	v_add_f32_e32 v43, v2, v147
	v_mul_f32_e32 v147, 0xbe3c28d5, v31
	s_delay_alu instid0(VALU_DEP_4) | instskip(NEXT) | instid1(VALU_DEP_4)
	v_add_f32_e32 v41, v142, v41
	v_fma_f32 v142, 0x3dbcf732, v24, -v143
	s_delay_alu instid0(VALU_DEP_1) | instskip(NEXT) | instid1(VALU_DEP_1)
	v_dual_fmac_f32 v44, 0xbf59a7d5, v23 :: v_dual_add_f32 v41, v142, v41
	v_dual_mul_f32 v146, 0xbeb8f4ab, v34 :: v_dual_add_f32 v43, v44, v43
	s_delay_alu instid0(VALU_DEP_1) | instskip(NEXT) | instid1(VALU_DEP_1)
	v_fma_f32 v44, 0x3f6eb680, v27, -v146
	v_dual_fmac_f32 v148, 0x3f3d2fb0, v8 :: v_dual_add_f32 v41, v44, v41
	s_delay_alu instid0(VALU_DEP_1) | instskip(NEXT) | instid1(VALU_DEP_1)
	v_dual_add_f32 v42, v145, v42 :: v_dual_add_f32 v43, v148, v43
	v_dual_mul_f32 v142, 0xbf7ee86f, v28 :: v_dual_add_f32 v43, v149, v43
	s_delay_alu instid0(VALU_DEP_1) | instskip(SKIP_3) | instid1(VALU_DEP_4)
	v_fma_f32 v145, 0x3dbcf732, v26, -v142
	v_mul_f32_e32 v44, 0xbf4c4adb, v36
	v_fma_f32 v149, 0xbf7ba420, v23, -v147
	v_dual_fmac_f32 v143, 0x3dbcf732, v24 :: v_dual_fmac_f32 v142, 0x3dbcf732, v26
	v_add_f32_e32 v145, v2, v145
	s_delay_alu instid0(VALU_DEP_4) | instskip(SKIP_2) | instid1(VALU_DEP_3)
	v_fma_f32 v148, 0xbf1a4643, v25, -v44
	v_fmac_f32_e32 v144, 0xbf7ba420, v11
	v_fmac_f32_e32 v44, 0xbf1a4643, v25
	v_dual_add_f32 v142, v2, v142 :: v_dual_add_f32 v41, v148, v41
	s_delay_alu instid0(VALU_DEP_3) | instskip(SKIP_3) | instid1(VALU_DEP_4)
	v_dual_mul_f32 v150, 0x3f763a35, v32 :: v_dual_add_f32 v43, v144, v43
	v_add_f32_e32 v144, v149, v145
	v_mul_f32_e32 v148, 0x3eb8f4ab, v29
	v_mul_f32_e32 v32, 0xbf65296c, v32
	v_fma_f32 v145, 0xbe8c1d8e, v8, -v150
	v_add_f32_e32 v43, v143, v43
	s_delay_alu instid0(VALU_DEP_2) | instskip(SKIP_1) | instid1(VALU_DEP_2)
	v_dual_fmac_f32 v146, 0x3f6eb680, v27 :: v_dual_add_f32 v143, v145, v144
	v_fma_f32 v144, 0x3f6eb680, v9, -v148
	v_dual_add_f32 v43, v146, v43 :: v_dual_mul_f32 v146, 0xbf06c442, v33
	v_mul_f32_e32 v145, 0xbf65296c, v30
	s_delay_alu instid0(VALU_DEP_3) | instskip(SKIP_1) | instid1(VALU_DEP_4)
	v_dual_fmac_f32 v148, 0x3f6eb680, v9 :: v_dual_add_f32 v143, v144, v143
	v_fmac_f32_e32 v147, 0xbf7ba420, v23
	v_add_f32_e32 v43, v44, v43
	s_delay_alu instid0(VALU_DEP_4) | instskip(SKIP_1) | instid1(VALU_DEP_2)
	v_fma_f32 v144, 0x3ee437d1, v11, -v145
	v_fmac_f32_e32 v150, 0xbe8c1d8e, v8
	v_dual_add_f32 v142, v147, v142 :: v_dual_add_f32 v143, v144, v143
	v_fma_f32 v144, 0xbf59a7d5, v24, -v146
	s_delay_alu instid0(VALU_DEP_2) | instskip(NEXT) | instid1(VALU_DEP_2)
	v_add_f32_e32 v44, v150, v142
	v_add_f32_e32 v142, v144, v143
	s_delay_alu instid0(VALU_DEP_2) | instskip(SKIP_3) | instid1(VALU_DEP_4)
	v_dual_fmac_f32 v145, 0x3ee437d1, v11 :: v_dual_add_f32 v44, v148, v44
	v_mul_f32_e32 v147, 0x3f4c4adb, v34
	v_mul_f32_e32 v144, 0xbf65296c, v28
	;; [unrolled: 1-line block ×3, first 2 shown]
	v_add_f32_e32 v44, v145, v44
	s_delay_alu instid0(VALU_DEP_4) | instskip(SKIP_1) | instid1(VALU_DEP_4)
	v_fma_f32 v143, 0xbf1a4643, v27, -v147
	v_mul_f32_e32 v149, 0x3f2c7751, v36
	v_fma_f32 v145, 0xbf1a4643, v23, -v148
	v_fmac_f32_e32 v147, 0xbf1a4643, v27
	v_fmac_f32_e32 v148, 0xbf1a4643, v23
	v_add_f32_e32 v142, v143, v142
	v_fma_f32 v143, 0x3ee437d1, v26, -v144
	v_fma_f32 v150, 0x3f3d2fb0, v25, -v149
	v_fmac_f32_e32 v149, 0x3f3d2fb0, v25
	s_delay_alu instid0(VALU_DEP_3) | instskip(NEXT) | instid1(VALU_DEP_1)
	v_dual_add_f32 v143, v2, v143 :: v_dual_fmac_f32 v146, 0xbf59a7d5, v24
	v_dual_add_f32 v142, v150, v142 :: v_dual_add_f32 v143, v145, v143
	v_fma_f32 v145, 0xbf7ba420, v8, -v151
	s_delay_alu instid0(VALU_DEP_3) | instskip(SKIP_2) | instid1(VALU_DEP_4)
	v_add_f32_e32 v44, v146, v44
	v_fmac_f32_e32 v144, 0x3ee437d1, v26
	v_fmac_f32_e32 v151, 0xbf7ba420, v8
	v_dual_add_f32 v143, v145, v143 :: v_dual_mul_f32 v146, 0x3f763a35, v29
	s_delay_alu instid0(VALU_DEP_3) | instskip(SKIP_1) | instid1(VALU_DEP_3)
	v_add_f32_e32 v144, v2, v144
	v_dual_add_f32 v44, v147, v44 :: v_dual_mul_f32 v147, 0xbeb8f4ab, v33
	v_fma_f32 v145, 0xbe8c1d8e, v9, -v146
	s_delay_alu instid0(VALU_DEP_2) | instskip(SKIP_1) | instid1(VALU_DEP_3)
	v_add_f32_e32 v44, v149, v44
	v_mul_f32_e32 v149, 0xbf06c442, v36
	v_dual_add_f32 v143, v145, v143 :: v_dual_mul_f32 v150, 0x3f2c7751, v30
	s_delay_alu instid0(VALU_DEP_1) | instskip(NEXT) | instid1(VALU_DEP_1)
	v_fma_f32 v145, 0x3f3d2fb0, v11, -v150
	v_add_f32_e32 v143, v145, v143
	v_fma_f32 v145, 0x3f6eb680, v24, -v147
	v_add_f32_e32 v144, v148, v144
	v_mul_f32_e32 v148, 0xbf7ee86f, v34
	v_fmac_f32_e32 v150, 0x3f3d2fb0, v11
	v_fmac_f32_e32 v147, 0x3f6eb680, v24
	v_add_f32_e32 v143, v145, v143
	s_delay_alu instid0(VALU_DEP_4) | instskip(SKIP_2) | instid1(VALU_DEP_3)
	v_fma_f32 v145, 0x3dbcf732, v27, -v148
	v_add_f32_e32 v144, v151, v144
	v_fma_f32 v151, 0xbf59a7d5, v25, -v149
	v_dual_add_f32 v143, v145, v143 :: v_dual_fmac_f32 v146, 0xbe8c1d8e, v9
	s_delay_alu instid0(VALU_DEP_1) | instskip(SKIP_1) | instid1(VALU_DEP_2)
	v_dual_add_f32 v143, v151, v143 :: v_dual_add_f32 v144, v146, v144
	v_mul_f32_e32 v146, 0xbf2c7751, v28
	v_dual_mul_f32 v151, 0x3f763a35, v33 :: v_dual_add_f32 v144, v150, v144
	s_delay_alu instid0(VALU_DEP_2) | instskip(SKIP_1) | instid1(VALU_DEP_3)
	v_fma_f32 v145, 0x3f3d2fb0, v26, -v146
	v_mul_f32_e32 v150, 0xbf7ee86f, v31
	v_dual_mul_f32 v31, 0xbf2c7751, v31 :: v_dual_add_f32 v144, v147, v144
	s_delay_alu instid0(VALU_DEP_3) | instskip(NEXT) | instid1(VALU_DEP_3)
	v_add_f32_e32 v145, v2, v145
	v_fma_f32 v147, 0x3dbcf732, v23, -v150
	s_delay_alu instid0(VALU_DEP_1) | instskip(SKIP_1) | instid1(VALU_DEP_1)
	v_add_f32_e32 v145, v147, v145
	v_fma_f32 v147, 0xbf1a4643, v8, -v152
	v_dual_add_f32 v145, v147, v145 :: v_dual_fmac_f32 v148, 0x3dbcf732, v27
	s_delay_alu instid0(VALU_DEP_1) | instskip(SKIP_2) | instid1(VALU_DEP_2)
	v_add_f32_e32 v144, v148, v144
	v_mul_f32_e32 v148, 0xbe3c28d5, v29
	v_mul_f32_e32 v29, 0xbf7ee86f, v29
	v_fma_f32 v147, 0xbf7ba420, v9, -v148
	s_delay_alu instid0(VALU_DEP_1) | instskip(SKIP_1) | instid1(VALU_DEP_1)
	v_add_f32_e32 v145, v147, v145
	v_add_f32_e32 v147, v2, v67
	v_dual_add_f32 v147, v147, v66 :: v_dual_fmac_f32 v150, 0x3dbcf732, v23
	s_delay_alu instid0(VALU_DEP_1) | instskip(NEXT) | instid1(VALU_DEP_1)
	v_add_f32_e32 v147, v147, v62
	v_dual_fmac_f32 v146, 0x3f3d2fb0, v26 :: v_dual_add_f32 v147, v147, v60
	s_delay_alu instid0(VALU_DEP_1) | instskip(NEXT) | instid1(VALU_DEP_1)
	v_dual_add_f32 v146, v2, v146 :: v_dual_add_f32 v147, v147, v59
	v_add_f32_e32 v146, v150, v146
	s_delay_alu instid0(VALU_DEP_2) | instskip(SKIP_1) | instid1(VALU_DEP_2)
	v_dual_fmac_f32 v152, 0xbf1a4643, v8 :: v_dual_add_f32 v147, v147, v57
	v_fmac_f32_e32 v148, 0xbf7ba420, v9
	v_dual_add_f32 v146, v152, v146 :: v_dual_fmac_f32 v149, 0xbf59a7d5, v25
	s_delay_alu instid0(VALU_DEP_1) | instskip(NEXT) | instid1(VALU_DEP_2)
	v_dual_add_f32 v147, v147, v55 :: v_dual_add_f32 v146, v148, v146
	v_dual_add_f32 v144, v149, v144 :: v_dual_mul_f32 v149, 0x3f06c442, v30
	v_mul_f32_e32 v30, 0xbf763a35, v30
	s_delay_alu instid0(VALU_DEP_3) | instskip(NEXT) | instid1(VALU_DEP_3)
	v_add_f32_e32 v147, v147, v54
	v_fma_f32 v150, 0xbf59a7d5, v11, -v149
	v_fmac_f32_e32 v149, 0xbf59a7d5, v11
	s_delay_alu instid0(VALU_DEP_2) | instskip(SKIP_1) | instid1(VALU_DEP_3)
	v_add_f32_e32 v145, v150, v145
	v_fma_f32 v150, 0xbe8c1d8e, v24, -v151
	v_dual_add_f32 v146, v149, v146 :: v_dual_fmac_f32 v151, 0xbe8c1d8e, v24
	s_delay_alu instid0(VALU_DEP_2) | instskip(NEXT) | instid1(VALU_DEP_2)
	v_dual_add_f32 v145, v150, v145 :: v_dual_mul_f32 v150, 0x3eb8f4ab, v36
	v_add_f32_e32 v146, v151, v146
	v_mul_f32_e32 v28, 0xbeb8f4ab, v28
	s_delay_alu instid0(VALU_DEP_1)
	v_fma_f32 v149, 0x3f6eb680, v26, -v28
	v_fmac_f32_e32 v28, 0x3f6eb680, v26
	v_fma_f32 v26, 0x3f3d2fb0, v23, -v31
	v_fmac_f32_e32 v31, 0x3f3d2fb0, v23
	;; [unrolled: 2-line block ×3, first 2 shown]
	v_add_f32_e32 v28, v2, v28
	v_add_f32_e32 v2, v2, v149
	s_delay_alu instid0(VALU_DEP_2) | instskip(NEXT) | instid1(VALU_DEP_2)
	v_add_f32_e32 v28, v31, v28
	v_add_f32_e32 v2, v26, v2
	v_fma_f32 v26, 0x3dbcf732, v9, -v29
	v_fmac_f32_e32 v29, 0x3dbcf732, v9
	v_fma_f32 v9, 0xbe8c1d8e, v11, -v30
	v_add_f32_e32 v28, v32, v28
	v_dual_add_f32 v2, v23, v2 :: v_dual_mul_f32 v23, 0xbf4c4adb, v33
	v_fmac_f32_e32 v30, 0xbe8c1d8e, v11
	s_delay_alu instid0(VALU_DEP_3) | instskip(NEXT) | instid1(VALU_DEP_3)
	v_add_f32_e32 v28, v29, v28
	v_add_f32_e32 v2, v26, v2
	s_delay_alu instid0(VALU_DEP_4)
	v_fma_f32 v11, 0xbf1a4643, v24, -v23
	v_mul_f32_e32 v26, 0xbf06c442, v34
	v_fmac_f32_e32 v23, 0xbf1a4643, v24
	v_add_f32_e32 v28, v30, v28
	v_mul_f32_e32 v152, 0x3f65296c, v34
	v_add_f32_e32 v2, v9, v2
	v_fma_f32 v9, 0xbf59a7d5, v27, -v26
	v_mul_f32_e32 v24, 0xbe3c28d5, v36
	v_dual_add_f32 v23, v23, v28 :: v_dual_fmac_f32 v26, 0xbf59a7d5, v27
	s_delay_alu instid0(VALU_DEP_4) | instskip(SKIP_1) | instid1(VALU_DEP_4)
	v_add_f32_e32 v2, v11, v2
	v_fma_f32 v148, 0x3ee437d1, v27, -v152
	v_fma_f32 v11, 0xbf7ba420, v25, -v24
	s_delay_alu instid0(VALU_DEP_4) | instskip(SKIP_3) | instid1(VALU_DEP_4)
	v_dual_fmac_f32 v24, 0xbf7ba420, v25 :: v_dual_add_f32 v23, v26, v23
	v_add3_u32 v26, 0, v130, v128
	v_add_f32_e32 v8, v147, v52
	v_dual_add_f32 v2, v9, v2 :: v_dual_add_f32 v145, v148, v145
	v_add_f32_e32 v9, v24, v23
	s_delay_alu instid0(VALU_DEP_3)
	v_dual_add_f32 v8, v8, v56 :: v_dual_add_nc_u32 v23, 0x400, v26
	v_fma_f32 v148, 0x3f6eb680, v25, -v150
	v_fmac_f32_e32 v152, 0x3ee437d1, v27
	v_fmac_f32_e32 v150, 0x3f6eb680, v25
	v_add_f32_e32 v2, v11, v2
	v_add_f32_e32 v8, v8, v58
	v_add_f32_e32 v25, v148, v145
	v_add_f32_e32 v27, v152, v146
	s_delay_alu instid0(VALU_DEP_3) | instskip(NEXT) | instid1(VALU_DEP_2)
	v_add_f32_e32 v8, v8, v53
	v_dual_add_f32 v24, v150, v27 :: v_dual_add_nc_u32 v27, 0x800, v26
	s_delay_alu instid0(VALU_DEP_2) | instskip(NEXT) | instid1(VALU_DEP_1)
	v_add_f32_e32 v8, v8, v61
	v_add_f32_e32 v8, v8, v63
	s_delay_alu instid0(VALU_DEP_1) | instskip(NEXT) | instid1(VALU_DEP_1)
	v_add_f32_e32 v8, v8, v68
	v_add_f32_e32 v8, v8, v70
	ds_store_2addr_b32 v23, v8, v9 offset0:220 offset1:227
	ds_store_2addr_b32 v23, v24, v144 offset0:234 offset1:241
	;; [unrolled: 1-line block ×8, first 2 shown]
	ds_store_b32 v26, v2 offset:2352
.LBB0_18:
	s_wait_alu 0xfffe
	s_or_b32 exec_lo, exec_lo, s1
	v_dual_add_f32 v2, v97, v135 :: v_dual_sub_f32 v23, v131, v138
	v_dual_add_f32 v11, v132, v51 :: v_dual_add_f32 v8, v135, v48
	s_delay_alu instid0(VALU_DEP_2)
	v_dual_sub_f32 v9, v133, v139 :: v_dual_add_f32 v2, v2, v132
	global_wb scope:SCOPE_SE
	s_wait_dscnt 0x0
	v_dual_mul_f32 v32, 0x3dbcf732, v11 :: v_dual_mul_f32 v27, 0x3dbcf732, v8
	v_dual_mul_f32 v30, 0xbf59a7d5, v8 :: v_dual_mul_f32 v35, 0xbf59a7d5, v11
	v_dual_add_f32 v2, v2, v120 :: v_dual_mul_f32 v31, 0x3f3d2fb0, v11
	v_mul_f32_e32 v25, 0x3f3d2fb0, v8
	s_delay_alu instid0(VALU_DEP_4) | instskip(SKIP_1) | instid1(VALU_DEP_4)
	v_fmamk_f32 v44, v23, 0x3f7ee86f, v32
	v_fmac_f32_e32 v32, 0xbf7ee86f, v23
	v_add_f32_e32 v2, v2, v115
	v_mul_f32_e32 v33, 0xbf1a4643, v11
	v_fmamk_f32 v42, v9, 0x3f06c442, v30
	v_fmac_f32_e32 v30, 0xbf06c442, v9
	s_barrier_signal -1
	v_add_f32_e32 v2, v2, v116
	v_mul_f32_e32 v29, 0xbf1a4643, v8
	s_barrier_wait -1
	global_inv scope:SCOPE_SE
	v_dual_add_f32 v2, v2, v111 :: v_dual_fmamk_f32 v37, v9, 0x3f2c7751, v25
	s_delay_alu instid0(VALU_DEP_1) | instskip(NEXT) | instid1(VALU_DEP_2)
	v_dual_add_f32 v2, v2, v107 :: v_dual_fmac_f32 v25, 0xbf2c7751, v9
	v_dual_mul_f32 v24, 0x3f6eb680, v8 :: v_dual_add_f32 v37, v97, v37
	s_delay_alu instid0(VALU_DEP_2) | instskip(NEXT) | instid1(VALU_DEP_3)
	v_dual_add_f32 v2, v2, v104 :: v_dual_fmamk_f32 v39, v9, 0x3f7ee86f, v27
	v_dual_mul_f32 v26, 0x3ee437d1, v8 :: v_dual_add_f32 v25, v97, v25
	s_delay_alu instid0(VALU_DEP_3) | instskip(NEXT) | instid1(VALU_DEP_3)
	v_fmamk_f32 v36, v9, 0x3eb8f4ab, v24
	v_add_f32_e32 v2, v2, v105
	v_fmac_f32_e32 v27, 0xbf7ee86f, v9
	v_dual_mul_f32 v28, 0xbe8c1d8e, v8 :: v_dual_add_f32 v39, v97, v39
	v_dual_fmamk_f32 v38, v9, 0x3f65296c, v26 :: v_dual_add_f32 v25, v32, v25
	s_delay_alu instid0(VALU_DEP_4) | instskip(NEXT) | instid1(VALU_DEP_4)
	v_add_f32_e32 v2, v2, v110
	v_dual_mul_f32 v8, 0xbf7ba420, v8 :: v_dual_add_f32 v27, v97, v27
	v_fmamk_f32 v41, v9, 0x3f4c4adb, v29
	v_fmac_f32_e32 v26, 0xbf65296c, v9
	s_delay_alu instid0(VALU_DEP_3) | instskip(SKIP_3) | instid1(VALU_DEP_4)
	v_dual_add_f32 v2, v2, v117 :: v_dual_fmamk_f32 v43, v9, 0x3e3c28d5, v8
	v_fmamk_f32 v40, v9, 0x3f763a35, v28
	v_fmac_f32_e32 v28, 0xbf763a35, v9
	v_fmac_f32_e32 v29, 0xbf4c4adb, v9
	v_add_f32_e32 v2, v2, v121
	v_dual_fmac_f32 v24, 0xbeb8f4ab, v9 :: v_dual_add_f32 v43, v97, v43
	v_fmac_f32_e32 v8, 0xbe3c28d5, v9
	v_fmamk_f32 v9, v23, 0x3f2c7751, v31
	v_dual_fmac_f32 v31, 0xbf2c7751, v23 :: v_dual_add_f32 v38, v97, v38
	s_delay_alu instid0(VALU_DEP_4) | instskip(SKIP_2) | instid1(VALU_DEP_3)
	v_add_f32_e32 v24, v97, v24
	v_dual_mul_f32 v34, 0xbf7ba420, v11 :: v_dual_add_f32 v41, v97, v41
	v_add_f32_e32 v2, v2, v50
	v_dual_add_f32 v24, v31, v24 :: v_dual_add_f32 v31, v44, v37
	v_dual_add_f32 v36, v97, v36 :: v_dual_fmamk_f32 v37, v23, 0xbf06c442, v35
	v_add_f32_e32 v29, v97, v29
	v_dual_fmac_f32 v35, 0x3f06c442, v23 :: v_dual_add_f32 v42, v97, v42
	s_delay_alu instid0(VALU_DEP_3) | instskip(SKIP_2) | instid1(VALU_DEP_2)
	v_dual_add_f32 v9, v9, v36 :: v_dual_fmamk_f32 v36, v23, 0x3e3c28d5, v34
	v_fmac_f32_e32 v34, 0xbe3c28d5, v23
	v_dual_fmamk_f32 v131, v23, 0x3f4c4adb, v33 :: v_dual_add_f32 v26, v97, v26
	v_dual_add_f32 v30, v97, v30 :: v_dual_add_f32 v27, v34, v27
	v_dual_fmac_f32 v33, 0xbf4c4adb, v23 :: v_dual_add_f32 v40, v97, v40
	s_delay_alu instid0(VALU_DEP_1) | instskip(NEXT) | instid1(VALU_DEP_2)
	v_dual_add_f32 v26, v33, v26 :: v_dual_mul_f32 v33, 0xbe8c1d8e, v11
	v_add_f32_e32 v37, v37, v40
	v_add_f32_e32 v28, v97, v28
	v_sub_f32_e32 v40, v119, v136
	v_add_f32_e32 v2, v2, v137
	v_fmamk_f32 v34, v23, 0xbf763a35, v33
	v_fmac_f32_e32 v33, 0x3f763a35, v23
	s_delay_alu instid0(VALU_DEP_1)
	v_dual_add_f32 v36, v36, v39 :: v_dual_add_f32 v29, v33, v29
	v_dual_add_f32 v33, v120, v137 :: v_dual_add_f32 v28, v35, v28
	v_mul_f32_e32 v35, 0x3ee437d1, v11
	v_mul_f32_e32 v11, 0x3f6eb680, v11
	v_add_f32_e32 v2, v2, v51
	v_add_f32_e32 v32, v131, v38
	s_delay_alu instid0(VALU_DEP_4) | instskip(SKIP_3) | instid1(VALU_DEP_3)
	v_fmamk_f32 v38, v23, 0xbf65296c, v35
	v_fmac_f32_e32 v35, 0x3f65296c, v23
	v_fmamk_f32 v39, v23, 0xbeb8f4ab, v11
	v_fmac_f32_e32 v11, 0x3eb8f4ab, v23
	v_dual_add_f32 v23, v35, v30 :: v_dual_add_f32 v8, v97, v8
	s_delay_alu instid0(VALU_DEP_3) | instskip(SKIP_4) | instid1(VALU_DEP_3)
	v_dual_add_f32 v30, v39, v43 :: v_dual_mul_f32 v39, 0xbf1a4643, v33
	v_add_f32_e32 v34, v34, v41
	v_dual_mul_f32 v41, 0x3ee437d1, v33 :: v_dual_add_f32 v2, v2, v48
	v_add_f32_e32 v38, v38, v42
	v_add_nc_u32_e32 v48, 0x400, v124
	v_fmamk_f32 v35, v40, 0x3f65296c, v41
	s_delay_alu instid0(VALU_DEP_1) | instskip(SKIP_2) | instid1(VALU_DEP_2)
	v_add_f32_e32 v9, v35, v9
	v_fmamk_f32 v35, v40, 0x3f4c4adb, v39
	v_fmac_f32_e32 v39, 0xbf4c4adb, v40
	v_add_f32_e32 v31, v35, v31
	s_delay_alu instid0(VALU_DEP_2) | instskip(SKIP_2) | instid1(VALU_DEP_1)
	v_add_f32_e32 v25, v39, v25
	v_dual_mul_f32 v39, 0x3f3d2fb0, v33 :: v_dual_add_f32 v8, v11, v8
	v_fmac_f32_e32 v41, 0xbf65296c, v40
	v_dual_mul_f32 v11, 0xbf7ba420, v33 :: v_dual_add_f32 v24, v41, v24
	s_delay_alu instid0(VALU_DEP_1) | instskip(SKIP_2) | instid1(VALU_DEP_2)
	v_fmamk_f32 v41, v40, 0xbe3c28d5, v11
	v_fmac_f32_e32 v11, 0x3e3c28d5, v40
	v_mul_f32_e32 v42, 0xbe8c1d8e, v33
	v_dual_add_f32 v32, v41, v32 :: v_dual_add_f32 v11, v11, v26
	s_delay_alu instid0(VALU_DEP_2) | instskip(SKIP_2) | instid1(VALU_DEP_3)
	v_fmamk_f32 v35, v40, 0xbf763a35, v42
	v_mul_f32_e32 v26, 0x3f6eb680, v33
	v_fmac_f32_e32 v42, 0x3f763a35, v40
	v_add_f32_e32 v35, v35, v36
	s_delay_alu instid0(VALU_DEP_3) | instskip(SKIP_2) | instid1(VALU_DEP_3)
	v_fmamk_f32 v41, v40, 0x3eb8f4ab, v26
	v_fmac_f32_e32 v26, 0xbeb8f4ab, v40
	v_fmamk_f32 v36, v40, 0xbf2c7751, v39
	v_dual_fmac_f32 v39, 0x3f2c7751, v40 :: v_dual_add_f32 v34, v41, v34
	s_delay_alu instid0(VALU_DEP_3) | instskip(SKIP_1) | instid1(VALU_DEP_4)
	v_dual_add_f32 v26, v26, v29 :: v_dual_add_f32 v29, v115, v50
	v_dual_add_f32 v27, v42, v27 :: v_dual_mul_f32 v42, 0x3dbcf732, v33
	v_add_f32_e32 v36, v36, v37
	s_delay_alu instid0(VALU_DEP_4) | instskip(SKIP_1) | instid1(VALU_DEP_4)
	v_dual_add_f32 v28, v39, v28 :: v_dual_mul_f32 v33, 0xbf59a7d5, v33
	v_sub_f32_e32 v39, v113, v134
	v_fmamk_f32 v37, v40, 0x3f7ee86f, v42
	s_delay_alu instid0(VALU_DEP_1) | instskip(NEXT) | instid1(VALU_DEP_4)
	v_dual_add_f32 v37, v37, v38 :: v_dual_add_nc_u32 v50, 0x800, v124
	v_fmamk_f32 v38, v40, 0x3f06c442, v33
	v_mul_f32_e32 v41, 0x3dbcf732, v29
	s_delay_alu instid0(VALU_DEP_2) | instskip(SKIP_1) | instid1(VALU_DEP_3)
	v_dual_fmac_f32 v33, 0xbf06c442, v40 :: v_dual_add_f32 v30, v38, v30
	v_fmac_f32_e32 v42, 0xbf7ee86f, v40
	v_fmamk_f32 v40, v39, 0x3f7ee86f, v41
	s_delay_alu instid0(VALU_DEP_3) | instskip(SKIP_1) | instid1(VALU_DEP_4)
	v_dual_fmac_f32 v41, 0xbf7ee86f, v39 :: v_dual_add_f32 v8, v33, v8
	v_mul_f32_e32 v33, 0xbe8c1d8e, v29
	v_add_f32_e32 v23, v42, v23
	s_delay_alu instid0(VALU_DEP_3) | instskip(NEXT) | instid1(VALU_DEP_3)
	v_dual_add_f32 v9, v40, v9 :: v_dual_add_f32 v24, v41, v24
	v_fmamk_f32 v40, v39, 0xbf763a35, v33
	v_mul_f32_e32 v41, 0x3f6eb680, v29
	v_fmac_f32_e32 v33, 0x3f763a35, v39
	v_mul_f32_e32 v38, 0xbf7ba420, v29
	s_delay_alu instid0(VALU_DEP_4) | instskip(NEXT) | instid1(VALU_DEP_3)
	v_add_f32_e32 v32, v40, v32
	v_dual_fmamk_f32 v40, v39, 0xbeb8f4ab, v41 :: v_dual_add_f32 v11, v33, v11
	v_mul_f32_e32 v33, 0xbf59a7d5, v29
	s_delay_alu instid0(VALU_DEP_4) | instskip(SKIP_1) | instid1(VALU_DEP_3)
	v_fmamk_f32 v42, v39, 0x3e3c28d5, v38
	v_fmac_f32_e32 v38, 0xbe3c28d5, v39
	v_dual_add_f32 v35, v40, v35 :: v_dual_fmamk_f32 v40, v39, 0x3f06c442, v33
	s_delay_alu instid0(VALU_DEP_1) | instskip(SKIP_1) | instid1(VALU_DEP_1)
	v_dual_add_f32 v31, v42, v31 :: v_dual_add_f32 v34, v40, v34
	v_fmac_f32_e32 v33, 0xbf06c442, v39
	v_dual_add_f32 v26, v33, v26 :: v_dual_add_f32 v33, v116, v121
	v_add_f32_e32 v25, v38, v25
	v_mul_f32_e32 v38, 0x3ee437d1, v29
	s_delay_alu instid0(VALU_DEP_1) | instskip(SKIP_1) | instid1(VALU_DEP_1)
	v_fmamk_f32 v42, v39, 0x3f65296c, v38
	v_fmac_f32_e32 v38, 0xbf65296c, v39
	v_dual_fmac_f32 v41, 0x3eb8f4ab, v39 :: v_dual_add_f32 v28, v38, v28
	s_delay_alu instid0(VALU_DEP_1) | instskip(SKIP_1) | instid1(VALU_DEP_2)
	v_dual_add_f32 v27, v41, v27 :: v_dual_mul_f32 v38, 0xbf1a4643, v29
	v_mul_f32_e32 v29, 0x3f3d2fb0, v29
	v_fmamk_f32 v40, v39, 0xbf4c4adb, v38
	s_delay_alu instid0(VALU_DEP_2) | instskip(NEXT) | instid1(VALU_DEP_2)
	v_fmamk_f32 v41, v39, 0xbf2c7751, v29
	v_dual_fmac_f32 v38, 0x3f4c4adb, v39 :: v_dual_add_f32 v37, v40, v37
	s_delay_alu instid0(VALU_DEP_2) | instskip(SKIP_2) | instid1(VALU_DEP_3)
	v_dual_add_f32 v30, v41, v30 :: v_dual_fmac_f32 v29, 0x3f2c7751, v39
	v_add_f32_e32 v36, v42, v36
	v_dual_sub_f32 v42, v114, v118 :: v_dual_mul_f32 v43, 0xbe8c1d8e, v33
	v_dual_add_f32 v8, v29, v8 :: v_dual_mul_f32 v29, 0x3f3d2fb0, v33
	s_delay_alu instid0(VALU_DEP_1) | instskip(SKIP_1) | instid1(VALU_DEP_2)
	v_fmamk_f32 v40, v42, 0xbf2c7751, v29
	v_fmac_f32_e32 v29, 0x3f2c7751, v42
	v_dual_mul_f32 v39, 0xbf59a7d5, v33 :: v_dual_add_f32 v32, v40, v32
	s_delay_alu instid0(VALU_DEP_2) | instskip(SKIP_1) | instid1(VALU_DEP_1)
	v_add_f32_e32 v11, v29, v11
	v_mul_f32_e32 v29, 0x3dbcf732, v33
	v_fmamk_f32 v40, v42, 0xbf7ee86f, v29
	v_fmac_f32_e32 v29, 0x3f7ee86f, v42
	s_delay_alu instid0(VALU_DEP_2) | instskip(NEXT) | instid1(VALU_DEP_2)
	v_dual_mul_f32 v41, 0x3ee437d1, v33 :: v_dual_add_f32 v34, v40, v34
	v_dual_add_f32 v26, v29, v26 :: v_dual_add_f32 v29, v111, v117
	v_add_f32_e32 v23, v38, v23
	v_fmamk_f32 v38, v42, 0x3f763a35, v43
	s_delay_alu instid0(VALU_DEP_1) | instskip(SKIP_2) | instid1(VALU_DEP_2)
	v_dual_sub_f32 v40, v109, v112 :: v_dual_add_f32 v9, v38, v9
	v_fmamk_f32 v38, v42, 0xbf06c442, v39
	v_fmac_f32_e32 v39, 0x3f06c442, v42
	v_add_f32_e32 v31, v38, v31
	s_delay_alu instid0(VALU_DEP_2) | instskip(SKIP_2) | instid1(VALU_DEP_3)
	v_dual_add_f32 v25, v39, v25 :: v_dual_fmamk_f32 v38, v42, 0x3f65296c, v41
	v_mul_f32_e32 v39, 0xbf7ba420, v33
	v_fmac_f32_e32 v41, 0xbf65296c, v42
	v_add_f32_e32 v35, v38, v35
	s_delay_alu instid0(VALU_DEP_3) | instskip(NEXT) | instid1(VALU_DEP_1)
	v_fmamk_f32 v38, v42, 0x3e3c28d5, v39
	v_dual_fmac_f32 v43, 0xbf763a35, v42 :: v_dual_add_f32 v36, v38, v36
	v_mul_f32_e32 v38, 0x3f6eb680, v33
	s_delay_alu instid0(VALU_DEP_2) | instskip(NEXT) | instid1(VALU_DEP_1)
	v_dual_mul_f32 v33, 0xbf1a4643, v33 :: v_dual_add_f32 v24, v43, v24
	v_fmamk_f32 v43, v42, 0x3f4c4adb, v33
	v_fmac_f32_e32 v33, 0xbf4c4adb, v42
	s_delay_alu instid0(VALU_DEP_2) | instskip(NEXT) | instid1(VALU_DEP_2)
	v_add_f32_e32 v30, v43, v30
	v_dual_fmac_f32 v39, 0xbe3c28d5, v42 :: v_dual_add_f32 v8, v33, v8
	s_delay_alu instid0(VALU_DEP_1) | instskip(SKIP_2) | instid1(VALU_DEP_3)
	v_dual_mul_f32 v33, 0x3f6eb680, v29 :: v_dual_add_f32 v28, v39, v28
	v_fmamk_f32 v39, v42, 0x3eb8f4ab, v38
	v_fmac_f32_e32 v38, 0xbeb8f4ab, v42
	v_fmamk_f32 v42, v40, 0x3eb8f4ab, v33
	v_fmac_f32_e32 v33, 0xbeb8f4ab, v40
	s_delay_alu instid0(VALU_DEP_4) | instskip(NEXT) | instid1(VALU_DEP_3)
	v_add_f32_e32 v37, v39, v37
	v_dual_mul_f32 v39, 0xbe8c1d8e, v29 :: v_dual_add_f32 v32, v42, v32
	v_add_f32_e32 v27, v41, v27
	v_mul_f32_e32 v41, 0xbf1a4643, v29
	v_add_f32_e32 v23, v38, v23
	s_delay_alu instid0(VALU_DEP_2) | instskip(SKIP_1) | instid1(VALU_DEP_2)
	v_dual_add_f32 v11, v33, v11 :: v_dual_fmamk_f32 v38, v40, 0x3f4c4adb, v41
	v_fmac_f32_e32 v41, 0xbf4c4adb, v40
	v_dual_add_f32 v9, v38, v9 :: v_dual_fmamk_f32 v38, v40, 0xbf763a35, v39
	s_delay_alu instid0(VALU_DEP_2) | instskip(NEXT) | instid1(VALU_DEP_1)
	v_dual_add_f32 v24, v41, v24 :: v_dual_mul_f32 v41, 0xbf59a7d5, v29
	v_dual_add_f32 v31, v38, v31 :: v_dual_fmamk_f32 v38, v40, 0x3f06c442, v41
	v_fmac_f32_e32 v41, 0xbf06c442, v40
	s_delay_alu instid0(VALU_DEP_2) | instskip(SKIP_1) | instid1(VALU_DEP_3)
	v_add_f32_e32 v33, v38, v35
	v_mul_f32_e32 v35, 0x3f3d2fb0, v29
	v_add_f32_e32 v27, v41, v27
	v_mul_f32_e32 v41, 0xbf7ba420, v29
	s_delay_alu instid0(VALU_DEP_3) | instskip(SKIP_1) | instid1(VALU_DEP_1)
	v_fmamk_f32 v42, v40, 0x3f2c7751, v35
	v_fmac_f32_e32 v35, 0xbf2c7751, v40
	v_dual_add_f32 v26, v35, v26 :: v_dual_fmac_f32 v39, 0x3f763a35, v40
	v_add_f32_e32 v35, v107, v110
	s_delay_alu instid0(VALU_DEP_2) | instskip(SKIP_2) | instid1(VALU_DEP_2)
	v_add_f32_e32 v25, v39, v25
	v_mul_f32_e32 v39, 0x3dbcf732, v29
	v_mul_f32_e32 v29, 0x3ee437d1, v29
	v_fmamk_f32 v38, v40, 0xbf7ee86f, v39
	s_delay_alu instid0(VALU_DEP_1) | instskip(SKIP_2) | instid1(VALU_DEP_2)
	v_add_f32_e32 v36, v38, v36
	v_fmamk_f32 v38, v40, 0x3e3c28d5, v41
	v_fmac_f32_e32 v41, 0xbe3c28d5, v40
	v_add_f32_e32 v37, v38, v37
	v_add_f32_e32 v34, v42, v34
	v_sub_f32_e32 v38, v106, v108
	v_fmamk_f32 v42, v40, 0xbf65296c, v29
	v_fmac_f32_e32 v29, 0x3f65296c, v40
	s_delay_alu instid0(VALU_DEP_2) | instskip(SKIP_2) | instid1(VALU_DEP_4)
	v_dual_add_f32 v23, v41, v23 :: v_dual_add_f32 v30, v42, v30
	v_fmac_f32_e32 v39, 0x3f7ee86f, v40
	v_mul_f32_e32 v40, 0x3ee437d1, v35
	v_add_f32_e32 v8, v29, v8
	s_delay_alu instid0(VALU_DEP_2) | instskip(SKIP_1) | instid1(VALU_DEP_2)
	v_dual_add_f32 v28, v39, v28 :: v_dual_fmamk_f32 v29, v38, 0xbf65296c, v40
	v_mul_f32_e32 v39, 0xbf59a7d5, v35
	v_dual_fmac_f32 v40, 0x3f65296c, v38 :: v_dual_add_f32 v29, v29, v31
	v_mul_f32_e32 v31, 0xbf1a4643, v35
	s_delay_alu instid0(VALU_DEP_3) | instskip(NEXT) | instid1(VALU_DEP_3)
	v_fmamk_f32 v41, v38, 0x3f06c442, v39
	v_dual_add_f32 v25, v40, v25 :: v_dual_mul_f32 v40, 0x3f6eb680, v35
	s_delay_alu instid0(VALU_DEP_3) | instskip(SKIP_1) | instid1(VALU_DEP_4)
	v_fmamk_f32 v42, v38, 0xbf4c4adb, v31
	v_fmac_f32_e32 v39, 0xbf06c442, v38
	v_add_f32_e32 v9, v41, v9
	v_fmac_f32_e32 v31, 0x3f4c4adb, v38
	s_delay_alu instid0(VALU_DEP_4) | instskip(NEXT) | instid1(VALU_DEP_4)
	v_add_f32_e32 v33, v42, v33
	v_dual_mul_f32 v41, 0x3dbcf732, v35 :: v_dual_add_f32 v24, v39, v24
	s_delay_alu instid0(VALU_DEP_3) | instskip(NEXT) | instid1(VALU_DEP_2)
	v_dual_add_f32 v27, v31, v27 :: v_dual_add_f32 v42, v49, v96
	v_fmamk_f32 v39, v38, 0x3f7ee86f, v41
	s_delay_alu instid0(VALU_DEP_1) | instskip(SKIP_1) | instid1(VALU_DEP_2)
	v_dual_fmac_f32 v41, 0xbf7ee86f, v38 :: v_dual_add_f32 v32, v39, v32
	v_fmamk_f32 v39, v38, 0x3eb8f4ab, v40
	v_dual_add_f32 v11, v41, v11 :: v_dual_fmac_f32 v40, 0xbeb8f4ab, v38
	s_delay_alu instid0(VALU_DEP_2) | instskip(NEXT) | instid1(VALU_DEP_2)
	v_dual_add_f32 v31, v39, v36 :: v_dual_mul_f32 v36, 0x3f3d2fb0, v35
	v_add_f32_e32 v28, v40, v28
	v_dual_add_f32 v40, v104, v105 :: v_dual_mul_f32 v41, 0xbf7ba420, v35
	v_mul_f32_e32 v35, 0xbe8c1d8e, v35
	s_delay_alu instid0(VALU_DEP_4) | instskip(SKIP_1) | instid1(VALU_DEP_4)
	v_fmamk_f32 v43, v38, 0xbf2c7751, v36
	v_fmac_f32_e32 v36, 0x3f2c7751, v38
	v_fmamk_f32 v39, v38, 0x3e3c28d5, v41
	s_delay_alu instid0(VALU_DEP_1) | instskip(SKIP_2) | instid1(VALU_DEP_1)
	v_dual_add_f32 v34, v39, v34 :: v_dual_add_f32 v39, v42, v93
	v_mul_f32_e32 v42, 0xbf7ba420, v40
	v_fmac_f32_e32 v41, 0xbe3c28d5, v38
	v_dual_add_f32 v26, v41, v26 :: v_dual_sub_f32 v41, v102, v103
	v_add_f32_e32 v23, v36, v23
	v_add_f32_e32 v37, v43, v37
	v_fmamk_f32 v43, v38, 0x3f763a35, v35
	v_fmac_f32_e32 v35, 0xbf763a35, v38
	v_fmamk_f32 v36, v41, 0x3e3c28d5, v42
	v_fmac_f32_e32 v42, 0xbe3c28d5, v41
	s_delay_alu instid0(VALU_DEP_4) | instskip(NEXT) | instid1(VALU_DEP_4)
	v_add_f32_e32 v30, v43, v30
	v_add_f32_e32 v8, v35, v8
	s_delay_alu instid0(VALU_DEP_4) | instskip(SKIP_4) | instid1(VALU_DEP_3)
	v_add_f32_e32 v102, v36, v9
	v_mul_f32_e32 v36, 0xbf59a7d5, v40
	v_add_f32_e32 v39, v39, v92
	v_add_f32_e32 v97, v42, v24
	v_mul_f32_e32 v35, 0x3f6eb680, v40
	v_dual_fmamk_f32 v24, v41, 0x3f06c442, v36 :: v_dual_add_f32 v39, v39, v91
	s_delay_alu instid0(VALU_DEP_1) | instskip(SKIP_1) | instid1(VALU_DEP_2)
	v_dual_fmac_f32 v36, 0xbf06c442, v41 :: v_dual_add_f32 v105, v24, v32
	v_mul_f32_e32 v24, 0xbf1a4643, v40
	v_add_f32_e32 v106, v36, v11
	s_delay_alu instid0(VALU_DEP_2) | instskip(NEXT) | instid1(VALU_DEP_1)
	v_dual_add_f32 v38, v39, v85 :: v_dual_fmamk_f32 v11, v41, 0x3f4c4adb, v24
	v_dual_fmac_f32 v24, 0xbf4c4adb, v41 :: v_dual_add_f32 v109, v11, v31
	v_mul_f32_e32 v11, 0xbe8c1d8e, v40
	s_delay_alu instid0(VALU_DEP_2) | instskip(SKIP_1) | instid1(VALU_DEP_3)
	v_dual_add_f32 v9, v38, v81 :: v_dual_add_f32 v110, v24, v28
	v_fmamk_f32 v38, v41, 0xbeb8f4ab, v35
	v_fmamk_f32 v24, v41, 0x3f763a35, v11
	s_delay_alu instid0(VALU_DEP_2) | instskip(NEXT) | instid1(VALU_DEP_2)
	v_add_f32_e32 v104, v38, v29
	v_add_f32_e32 v113, v24, v37
	v_add_f32_e32 v24, v96, v47
	s_delay_alu instid0(VALU_DEP_1) | instskip(SKIP_1) | instid1(VALU_DEP_1)
	v_dual_sub_f32 v37, v94, v99 :: v_dual_mul_f32 v28, 0x3f6eb680, v24
	v_fmac_f32_e32 v35, 0x3eb8f4ab, v41
	v_add_f32_e32 v103, v35, v25
	v_mul_f32_e32 v25, 0x3f3d2fb0, v40
	s_delay_alu instid0(VALU_DEP_1) | instskip(SKIP_1) | instid1(VALU_DEP_1)
	v_fmamk_f32 v29, v41, 0xbf2c7751, v25
	v_fmac_f32_e32 v25, 0x3f2c7751, v41
	v_add_f32_e32 v107, v25, v27
	v_mul_f32_e32 v25, 0x3ee437d1, v40
	s_delay_alu instid0(VALU_DEP_1) | instskip(NEXT) | instid1(VALU_DEP_1)
	v_fmamk_f32 v27, v41, 0xbf65296c, v25
	v_add_f32_e32 v112, v27, v34
	v_dual_sub_f32 v27, v95, v101 :: v_dual_mul_f32 v34, 0xbf59a7d5, v24
	v_add_f32_e32 v9, v9, v76
	s_delay_alu instid0(VALU_DEP_2) | instskip(SKIP_1) | instid1(VALU_DEP_1)
	v_fmamk_f32 v35, v27, 0x3f06c442, v34
	v_fmac_f32_e32 v34, 0xbf06c442, v27
	v_dual_add_f32 v34, v49, v34 :: v_dual_fmac_f32 v25, 0x3f65296c, v41
	s_delay_alu instid0(VALU_DEP_1) | instskip(SKIP_1) | instid1(VALU_DEP_1)
	v_add_f32_e32 v111, v25, v26
	v_mul_f32_e32 v25, 0x3dbcf732, v40
	v_fmamk_f32 v26, v41, 0xbf7ee86f, v25
	s_delay_alu instid0(VALU_DEP_1) | instskip(NEXT) | instid1(VALU_DEP_1)
	v_dual_fmac_f32 v25, 0x3f7ee86f, v41 :: v_dual_add_f32 v96, v26, v30
	v_dual_add_f32 v101, v25, v8 :: v_dual_fmamk_f32 v8, v27, 0x3eb8f4ab, v28
	v_dual_fmac_f32 v28, 0xbeb8f4ab, v27 :: v_dual_add_f32 v9, v9, v73
	v_mul_f32_e32 v30, 0xbe8c1d8e, v24
	s_delay_alu instid0(VALU_DEP_3) | instskip(NEXT) | instid1(VALU_DEP_3)
	v_add_f32_e32 v8, v49, v8
	v_add_f32_e32 v25, v49, v28
	s_delay_alu instid0(VALU_DEP_4) | instskip(NEXT) | instid1(VALU_DEP_1)
	v_dual_mul_f32 v28, 0x3dbcf732, v24 :: v_dual_add_f32 v9, v9, v74
	v_add_f32_e32 v9, v9, v77
	s_delay_alu instid0(VALU_DEP_1) | instskip(NEXT) | instid1(VALU_DEP_1)
	v_add_f32_e32 v9, v9, v83
	v_add_f32_e32 v9, v9, v88
	s_delay_alu instid0(VALU_DEP_1) | instskip(NEXT) | instid1(VALU_DEP_1)
	v_add_f32_e32 v9, v9, v45
	v_add_f32_e32 v9, v9, v46
	s_delay_alu instid0(VALU_DEP_1) | instskip(SKIP_1) | instid1(VALU_DEP_1)
	v_add_f32_e32 v9, v9, v22
	v_add_f32_e32 v22, v93, v22
	v_mul_f32_e32 v38, 0x3f3d2fb0, v22
	v_mul_f32_e32 v40, 0xbf1a4643, v22
	s_delay_alu instid0(VALU_DEP_2) | instskip(SKIP_2) | instid1(VALU_DEP_3)
	v_fmamk_f32 v39, v37, 0x3f2c7751, v38
	v_fmac_f32_e32 v38, 0xbf2c7751, v37
	v_add_f32_e32 v108, v29, v33
	v_dual_add_f32 v8, v39, v8 :: v_dual_mul_f32 v39, 0xbf7ba420, v22
	s_delay_alu instid0(VALU_DEP_3)
	v_dual_add_f32 v25, v38, v25 :: v_dual_fmamk_f32 v38, v37, 0x3f4c4adb, v40
	v_fmac_f32_e32 v40, 0xbf4c4adb, v37
	v_dual_add_f32 v114, v9, v47 :: v_dual_mul_f32 v9, 0x3ee437d1, v24
	v_fmamk_f32 v29, v27, 0x3f7ee86f, v28
	v_fmamk_f32 v32, v27, 0x3f763a35, v30
	v_fmac_f32_e32 v30, 0xbf763a35, v27
	v_fmac_f32_e32 v28, 0xbf7ee86f, v27
	v_fmamk_f32 v26, v27, 0x3f65296c, v9
	v_fmac_f32_e32 v9, 0xbf65296c, v27
	v_add_f32_e32 v29, v49, v29
	v_add_f32_e32 v30, v49, v30
	;; [unrolled: 1-line block ×6, first 2 shown]
	s_delay_alu instid0(VALU_DEP_3) | instskip(NEXT) | instid1(VALU_DEP_3)
	v_add_f32_e32 v26, v38, v26
	v_dual_fmamk_f32 v38, v37, 0x3e3c28d5, v39 :: v_dual_add_f32 v9, v40, v9
	v_mul_f32_e32 v40, 0xbe8c1d8e, v22
	v_fmac_f32_e32 v11, 0xbf763a35, v41
	v_mul_f32_e32 v31, 0xbf1a4643, v24
	s_delay_alu instid0(VALU_DEP_4) | instskip(SKIP_1) | instid1(VALU_DEP_4)
	v_add_f32_e32 v29, v38, v29
	v_fmac_f32_e32 v39, 0xbe3c28d5, v37
	v_dual_fmamk_f32 v38, v37, 0xbf763a35, v40 :: v_dual_add_f32 v95, v11, v23
	v_mul_f32_e32 v11, 0x3f3d2fb0, v24
	v_mul_f32_e32 v24, 0xbf7ba420, v24
	s_delay_alu instid0(VALU_DEP_4)
	v_add_f32_e32 v28, v39, v28
	v_fmamk_f32 v33, v27, 0x3f4c4adb, v31
	v_fmac_f32_e32 v31, 0xbf4c4adb, v27
	v_fmamk_f32 v23, v27, 0x3f2c7751, v11
	v_fmamk_f32 v36, v27, 0x3e3c28d5, v24
	v_fmac_f32_e32 v11, 0xbf2c7751, v27
	v_dual_fmac_f32 v24, 0xbe3c28d5, v27 :: v_dual_add_f32 v33, v49, v33
	s_delay_alu instid0(VALU_DEP_3) | instskip(NEXT) | instid1(VALU_DEP_3)
	v_dual_fmac_f32 v40, 0x3f763a35, v37 :: v_dual_add_f32 v27, v49, v36
	v_dual_mul_f32 v36, 0x3dbcf732, v22 :: v_dual_add_f32 v11, v49, v11
	s_delay_alu instid0(VALU_DEP_3) | instskip(SKIP_1) | instid1(VALU_DEP_3)
	v_dual_add_f32 v33, v38, v33 :: v_dual_add_f32 v38, v92, v46
	v_add_f32_e32 v23, v49, v23
	v_fmamk_f32 v41, v37, 0x3f7ee86f, v36
	v_fmac_f32_e32 v36, 0xbf7ee86f, v37
	v_add_f32_e32 v24, v49, v24
	s_delay_alu instid0(VALU_DEP_3) | instskip(NEXT) | instid1(VALU_DEP_3)
	v_dual_mul_f32 v42, 0x3ee437d1, v38 :: v_dual_add_f32 v23, v41, v23
	v_dual_add_f32 v11, v36, v11 :: v_dual_mul_f32 v36, 0xbf59a7d5, v22
	s_delay_alu instid0(VALU_DEP_1) | instskip(SKIP_1) | instid1(VALU_DEP_2)
	v_fmamk_f32 v41, v37, 0xbf06c442, v36
	v_fmac_f32_e32 v36, 0x3f06c442, v37
	v_add_f32_e32 v32, v41, v32
	s_delay_alu instid0(VALU_DEP_2) | instskip(SKIP_3) | instid1(VALU_DEP_3)
	v_add_f32_e32 v30, v36, v30
	v_dual_mul_f32 v36, 0x3ee437d1, v22 :: v_dual_add_f32 v31, v49, v31
	v_mul_f32_e32 v22, 0x3f6eb680, v22
	v_sub_f32_e32 v41, v90, v98
	v_fmamk_f32 v39, v37, 0xbf65296c, v36
	s_delay_alu instid0(VALU_DEP_4) | instskip(NEXT) | instid1(VALU_DEP_1)
	v_dual_fmac_f32 v36, 0x3f65296c, v37 :: v_dual_add_f32 v31, v40, v31
	v_add_f32_e32 v34, v36, v34
	s_delay_alu instid0(VALU_DEP_4)
	v_fmamk_f32 v36, v41, 0x3f65296c, v42
	v_fmamk_f32 v40, v37, 0xbeb8f4ab, v22
	v_fmac_f32_e32 v22, 0x3eb8f4ab, v37
	v_mul_f32_e32 v37, 0xbf1a4643, v38
	v_fmac_f32_e32 v42, 0xbf65296c, v41
	v_add_f32_e32 v8, v36, v8
	s_delay_alu instid0(VALU_DEP_4) | instskip(NEXT) | instid1(VALU_DEP_4)
	v_add_f32_e32 v22, v22, v24
	v_fmamk_f32 v36, v41, 0x3f4c4adb, v37
	v_fmac_f32_e32 v37, 0xbf4c4adb, v41
	s_delay_alu instid0(VALU_DEP_2) | instskip(NEXT) | instid1(VALU_DEP_2)
	v_dual_mul_f32 v24, 0xbf7ba420, v38 :: v_dual_add_f32 v23, v36, v23
	v_add_f32_e32 v11, v37, v11
	v_mul_f32_e32 v37, 0x3f3d2fb0, v38
	v_dual_add_f32 v27, v40, v27 :: v_dual_mul_f32 v40, 0xbe8c1d8e, v38
	s_delay_alu instid0(VALU_DEP_1) | instskip(SKIP_1) | instid1(VALU_DEP_2)
	v_fmamk_f32 v36, v41, 0xbf763a35, v40
	v_fmac_f32_e32 v40, 0x3f763a35, v41
	v_dual_add_f32 v29, v36, v29 :: v_dual_fmamk_f32 v36, v41, 0xbf2c7751, v37
	s_delay_alu instid0(VALU_DEP_2) | instskip(SKIP_1) | instid1(VALU_DEP_3)
	v_dual_fmac_f32 v37, 0x3f2c7751, v41 :: v_dual_add_f32 v28, v40, v28
	v_dual_mul_f32 v40, 0x3dbcf732, v38 :: v_dual_add_f32 v25, v42, v25
	v_add_f32_e32 v32, v36, v32
	s_delay_alu instid0(VALU_DEP_3) | instskip(SKIP_3) | instid1(VALU_DEP_3)
	v_add_f32_e32 v30, v37, v30
	v_add_f32_e32 v35, v49, v35
	v_mul_f32_e32 v37, 0xbf59a7d5, v38
	v_fmamk_f32 v36, v41, 0x3f7ee86f, v40
	v_dual_fmac_f32 v40, 0xbf7ee86f, v41 :: v_dual_add_f32 v35, v39, v35
	v_fmamk_f32 v39, v41, 0xbe3c28d5, v24
	v_fmac_f32_e32 v24, 0x3e3c28d5, v41
	s_delay_alu instid0(VALU_DEP_3) | instskip(NEXT) | instid1(VALU_DEP_2)
	v_add_f32_e32 v34, v40, v34
	v_dual_add_f32 v26, v39, v26 :: v_dual_add_f32 v9, v24, v9
	v_mul_f32_e32 v24, 0x3f6eb680, v38
	s_delay_alu instid0(VALU_DEP_1) | instskip(SKIP_1) | instid1(VALU_DEP_1)
	v_dual_sub_f32 v38, v86, v89 :: v_dual_fmamk_f32 v39, v41, 0x3eb8f4ab, v24
	v_fmac_f32_e32 v24, 0xbeb8f4ab, v41
	v_dual_add_f32 v33, v39, v33 :: v_dual_add_f32 v24, v24, v31
	v_add_f32_e32 v31, v91, v45
	s_delay_alu instid0(VALU_DEP_1) | instskip(NEXT) | instid1(VALU_DEP_1)
	v_mul_f32_e32 v39, 0x3dbcf732, v31
	v_fmamk_f32 v40, v38, 0x3f7ee86f, v39
	s_delay_alu instid0(VALU_DEP_1) | instskip(SKIP_3) | instid1(VALU_DEP_2)
	v_add_f32_e32 v8, v40, v8
	v_mul_f32_e32 v40, 0x3f6eb680, v31
	v_dual_add_f32 v35, v36, v35 :: v_dual_fmamk_f32 v36, v41, 0x3f06c442, v37
	v_fmac_f32_e32 v37, 0xbf06c442, v41
	v_add_f32_e32 v27, v36, v27
	v_mul_f32_e32 v36, 0xbf7ba420, v31
	s_delay_alu instid0(VALU_DEP_1) | instskip(SKIP_2) | instid1(VALU_DEP_3)
	v_dual_add_f32 v22, v37, v22 :: v_dual_fmamk_f32 v41, v38, 0x3e3c28d5, v36
	v_fmac_f32_e32 v36, 0xbe3c28d5, v38
	v_mul_f32_e32 v37, 0xbe8c1d8e, v31
	v_add_f32_e32 v23, v41, v23
	s_delay_alu instid0(VALU_DEP_3) | instskip(SKIP_1) | instid1(VALU_DEP_1)
	v_add_f32_e32 v11, v36, v11
	v_mul_f32_e32 v36, 0x3ee437d1, v31
	v_fmamk_f32 v41, v38, 0x3f65296c, v36
	s_delay_alu instid0(VALU_DEP_1) | instskip(SKIP_1) | instid1(VALU_DEP_2)
	v_dual_add_f32 v32, v41, v32 :: v_dual_fmac_f32 v39, 0xbf7ee86f, v38
	v_sub_f32_e32 v41, v84, v87
	v_add_f32_e32 v25, v39, v25
	v_fmamk_f32 v39, v38, 0xbf763a35, v37
	v_fmac_f32_e32 v37, 0x3f763a35, v38
	s_delay_alu instid0(VALU_DEP_1) | instskip(SKIP_3) | instid1(VALU_DEP_3)
	v_dual_add_f32 v26, v39, v26 :: v_dual_add_f32 v9, v37, v9
	v_fmac_f32_e32 v36, 0xbf65296c, v38
	v_fmamk_f32 v39, v38, 0xbeb8f4ab, v40
	v_fmac_f32_e32 v40, 0x3eb8f4ab, v38
	v_dual_add_f32 v30, v36, v30 :: v_dual_mul_f32 v37, 0xbf59a7d5, v31
	s_delay_alu instid0(VALU_DEP_3) | instskip(NEXT) | instid1(VALU_DEP_3)
	v_dual_add_f32 v29, v39, v29 :: v_dual_mul_f32 v36, 0xbf1a4643, v31
	v_dual_mul_f32 v31, 0x3f3d2fb0, v31 :: v_dual_add_f32 v28, v40, v28
	s_delay_alu instid0(VALU_DEP_3) | instskip(SKIP_1) | instid1(VALU_DEP_3)
	v_fmamk_f32 v39, v38, 0x3f06c442, v37
	v_fmac_f32_e32 v37, 0xbf06c442, v38
	v_fmamk_f32 v40, v38, 0xbf2c7751, v31
	s_delay_alu instid0(VALU_DEP_2) | instskip(SKIP_1) | instid1(VALU_DEP_2)
	v_dual_fmac_f32 v31, 0x3f2c7751, v38 :: v_dual_add_f32 v24, v37, v24
	v_add_f32_e32 v37, v85, v88
	v_dual_add_f32 v27, v40, v27 :: v_dual_add_f32 v22, v31, v22
	s_delay_alu instid0(VALU_DEP_2) | instskip(SKIP_4) | instid1(VALU_DEP_2)
	v_mul_f32_e32 v40, 0x3ee437d1, v37
	v_mul_f32_e32 v42, 0xbe8c1d8e, v37
	v_add_f32_e32 v33, v39, v33
	v_fmamk_f32 v39, v38, 0xbf4c4adb, v36
	v_fmac_f32_e32 v36, 0x3f4c4adb, v38
	v_dual_mul_f32 v38, 0xbf59a7d5, v37 :: v_dual_add_f32 v35, v39, v35
	s_delay_alu instid0(VALU_DEP_2) | instskip(SKIP_2) | instid1(VALU_DEP_2)
	v_add_f32_e32 v34, v36, v34
	v_fmamk_f32 v36, v41, 0x3f763a35, v42
	v_fmac_f32_e32 v42, 0xbf763a35, v41
	v_add_f32_e32 v8, v36, v8
	v_fmamk_f32 v36, v41, 0xbf06c442, v38
	s_delay_alu instid0(VALU_DEP_1) | instskip(NEXT) | instid1(VALU_DEP_1)
	v_dual_fmac_f32 v38, 0x3f06c442, v41 :: v_dual_add_f32 v23, v36, v23
	v_dual_add_f32 v11, v38, v11 :: v_dual_fmamk_f32 v36, v41, 0x3f65296c, v40
	v_fmac_f32_e32 v40, 0xbf65296c, v41
	v_mul_f32_e32 v38, 0xbf7ba420, v37
	v_mul_f32_e32 v31, 0x3f3d2fb0, v37
	s_delay_alu instid0(VALU_DEP_4) | instskip(NEXT) | instid1(VALU_DEP_4)
	v_add_f32_e32 v29, v36, v29
	v_add_f32_e32 v28, v40, v28
	s_delay_alu instid0(VALU_DEP_4) | instskip(SKIP_2) | instid1(VALU_DEP_3)
	v_fmamk_f32 v36, v41, 0x3e3c28d5, v38
	v_fmac_f32_e32 v38, 0xbe3c28d5, v41
	v_mul_f32_e32 v40, 0x3f6eb680, v37
	v_dual_add_f32 v25, v42, v25 :: v_dual_add_f32 v32, v36, v32
	s_delay_alu instid0(VALU_DEP_3) | instskip(NEXT) | instid1(VALU_DEP_3)
	v_add_f32_e32 v30, v38, v30
	v_fmamk_f32 v36, v41, 0x3eb8f4ab, v40
	v_fmamk_f32 v39, v41, 0xbf2c7751, v31
	v_fmac_f32_e32 v31, 0x3f2c7751, v41
	v_fmac_f32_e32 v40, 0xbeb8f4ab, v41
	v_sub_f32_e32 v38, v80, v82
	s_delay_alu instid0(VALU_DEP_4) | instskip(NEXT) | instid1(VALU_DEP_3)
	v_dual_add_f32 v35, v36, v35 :: v_dual_add_f32 v26, v39, v26
	v_dual_add_f32 v9, v31, v9 :: v_dual_add_f32 v34, v40, v34
	v_mul_f32_e32 v31, 0x3dbcf732, v37
	v_mul_f32_e32 v37, 0xbf1a4643, v37
	s_delay_alu instid0(VALU_DEP_1) | instskip(SKIP_1) | instid1(VALU_DEP_1)
	v_fmamk_f32 v36, v41, 0x3f4c4adb, v37
	v_fmac_f32_e32 v37, 0xbf4c4adb, v41
	v_dual_add_f32 v27, v36, v27 :: v_dual_add_f32 v22, v37, v22
	v_fmamk_f32 v39, v41, 0xbf7ee86f, v31
	v_fmac_f32_e32 v31, 0x3f7ee86f, v41
	s_delay_alu instid0(VALU_DEP_2) | instskip(NEXT) | instid1(VALU_DEP_2)
	v_add_f32_e32 v33, v39, v33
	v_dual_add_f32 v24, v31, v24 :: v_dual_add_f32 v31, v81, v83
	s_delay_alu instid0(VALU_DEP_1) | instskip(SKIP_2) | instid1(VALU_DEP_3)
	v_mul_f32_e32 v36, 0xbe8c1d8e, v31
	v_mul_f32_e32 v39, 0xbf1a4643, v31
	;; [unrolled: 1-line block ×3, first 2 shown]
	v_fmamk_f32 v41, v38, 0xbf763a35, v36
	v_fmac_f32_e32 v36, 0x3f763a35, v38
	s_delay_alu instid0(VALU_DEP_2) | instskip(NEXT) | instid1(VALU_DEP_2)
	v_dual_fmamk_f32 v40, v38, 0x3f4c4adb, v39 :: v_dual_add_f32 v23, v41, v23
	v_add_f32_e32 v11, v36, v11
	v_mul_f32_e32 v36, 0x3dbcf732, v31
	s_delay_alu instid0(VALU_DEP_3) | instskip(SKIP_1) | instid1(VALU_DEP_3)
	v_add_f32_e32 v8, v40, v8
	v_mul_f32_e32 v40, 0xbf59a7d5, v31
	v_fmamk_f32 v41, v38, 0xbf7ee86f, v36
	s_delay_alu instid0(VALU_DEP_1) | instskip(SKIP_1) | instid1(VALU_DEP_1)
	v_dual_add_f32 v32, v41, v32 :: v_dual_sub_f32 v41, v79, v75
	v_fmac_f32_e32 v39, 0xbf4c4adb, v38
	v_add_f32_e32 v25, v39, v25
	v_fmamk_f32 v39, v38, 0x3eb8f4ab, v37
	v_fmac_f32_e32 v37, 0xbeb8f4ab, v38
	s_delay_alu instid0(VALU_DEP_1) | instskip(SKIP_3) | instid1(VALU_DEP_3)
	v_dual_add_f32 v26, v39, v26 :: v_dual_add_f32 v9, v37, v9
	v_fmac_f32_e32 v36, 0x3f7ee86f, v38
	v_fmamk_f32 v39, v38, 0x3f06c442, v40
	v_fmac_f32_e32 v40, 0xbf06c442, v38
	v_dual_add_f32 v30, v36, v30 :: v_dual_mul_f32 v37, 0x3f3d2fb0, v31
	s_delay_alu instid0(VALU_DEP_3) | instskip(NEXT) | instid1(VALU_DEP_2)
	v_dual_add_f32 v29, v39, v29 :: v_dual_mul_f32 v36, 0xbf7ba420, v31
	v_dual_add_f32 v28, v40, v28 :: v_dual_fmamk_f32 v39, v38, 0x3f2c7751, v37
	v_fmac_f32_e32 v37, 0xbf2c7751, v38
	s_delay_alu instid0(VALU_DEP_1) | instskip(SKIP_1) | instid1(VALU_DEP_4)
	v_dual_add_f32 v24, v37, v24 :: v_dual_add_f32 v37, v76, v77
	v_mul_f32_e32 v31, 0x3ee437d1, v31
	v_add_f32_e32 v33, v39, v33
	s_delay_alu instid0(VALU_DEP_3) | instskip(NEXT) | instid1(VALU_DEP_3)
	v_mul_f32_e32 v42, 0xbf59a7d5, v37
	v_fmamk_f32 v40, v38, 0xbf65296c, v31
	v_fmac_f32_e32 v31, 0x3f65296c, v38
	s_delay_alu instid0(VALU_DEP_1) | instskip(NEXT) | instid1(VALU_DEP_1)
	v_dual_add_f32 v22, v31, v22 :: v_dual_fmamk_f32 v39, v38, 0x3e3c28d5, v36
	v_dual_fmac_f32 v36, 0xbe3c28d5, v38 :: v_dual_add_f32 v35, v39, v35
	s_delay_alu instid0(VALU_DEP_1) | instskip(SKIP_4) | instid1(VALU_DEP_4)
	v_add_f32_e32 v34, v36, v34
	v_fmamk_f32 v36, v41, 0x3f06c442, v42
	v_fmac_f32_e32 v42, 0xbf06c442, v41
	v_dual_mul_f32 v38, 0x3ee437d1, v37 :: v_dual_add_f32 v27, v40, v27
	v_mul_f32_e32 v40, 0xbf1a4643, v37
	v_dual_add_f32 v8, v36, v8 :: v_dual_mul_f32 v31, 0x3dbcf732, v37
	s_delay_alu instid0(VALU_DEP_3) | instskip(NEXT) | instid1(VALU_DEP_1)
	v_fmamk_f32 v36, v41, 0xbf65296c, v38
	v_dual_fmac_f32 v38, 0x3f65296c, v41 :: v_dual_add_f32 v23, v36, v23
	s_delay_alu instid0(VALU_DEP_1) | instskip(SKIP_2) | instid1(VALU_DEP_3)
	v_dual_add_f32 v11, v38, v11 :: v_dual_fmamk_f32 v36, v41, 0xbf4c4adb, v40
	v_fmac_f32_e32 v40, 0x3f4c4adb, v41
	v_mul_f32_e32 v38, 0x3f6eb680, v37
	v_add_f32_e32 v29, v36, v29
	s_delay_alu instid0(VALU_DEP_3) | instskip(NEXT) | instid1(VALU_DEP_3)
	v_add_f32_e32 v28, v40, v28
	v_fmamk_f32 v36, v41, 0x3eb8f4ab, v38
	v_fmac_f32_e32 v38, 0xbeb8f4ab, v41
	v_mul_f32_e32 v40, 0x3f3d2fb0, v37
	s_delay_alu instid0(VALU_DEP_3) | instskip(NEXT) | instid1(VALU_DEP_3)
	v_add_f32_e32 v32, v36, v32
	v_add_f32_e32 v30, v38, v30
	v_dual_sub_f32 v38, v78, v72 :: v_dual_fmamk_f32 v39, v41, 0x3f7ee86f, v31
	s_delay_alu instid0(VALU_DEP_1) | instskip(NEXT) | instid1(VALU_DEP_1)
	v_dual_fmac_f32 v31, 0xbf7ee86f, v41 :: v_dual_add_f32 v26, v39, v26
	v_add_f32_e32 v9, v31, v9
	v_mul_f32_e32 v31, 0xbf7ba420, v37
	s_delay_alu instid0(VALU_DEP_1) | instskip(SKIP_1) | instid1(VALU_DEP_1)
	v_fmamk_f32 v39, v41, 0x3e3c28d5, v31
	v_fmac_f32_e32 v31, 0xbe3c28d5, v41
	v_dual_add_f32 v24, v31, v24 :: v_dual_add_f32 v31, v73, v74
	v_fmamk_f32 v36, v41, 0xbf2c7751, v40
	s_delay_alu instid0(VALU_DEP_1) | instskip(SKIP_1) | instid1(VALU_DEP_2)
	v_dual_fmac_f32 v40, 0x3f2c7751, v41 :: v_dual_add_f32 v35, v36, v35
	v_mul_f32_e32 v37, 0xbe8c1d8e, v37
	v_dual_add_f32 v25, v42, v25 :: v_dual_add_f32 v34, v40, v34
	s_delay_alu instid0(VALU_DEP_2) | instskip(NEXT) | instid1(VALU_DEP_1)
	v_fmamk_f32 v36, v41, 0x3f763a35, v37
	v_add_f32_e32 v27, v36, v27
	v_dual_mul_f32 v36, 0x3f6eb680, v31 :: v_dual_add_f32 v33, v39, v33
	v_fmac_f32_e32 v37, 0xbf763a35, v41
	s_delay_alu instid0(VALU_DEP_2) | instskip(SKIP_1) | instid1(VALU_DEP_3)
	v_fmamk_f32 v41, v38, 0xbeb8f4ab, v36
	v_fmac_f32_e32 v36, 0x3eb8f4ab, v38
	v_dual_mul_f32 v39, 0xbf7ba420, v31 :: v_dual_add_f32 v22, v37, v22
	v_mul_f32_e32 v37, 0xbf59a7d5, v31
	s_delay_alu instid0(VALU_DEP_4) | instskip(SKIP_1) | instid1(VALU_DEP_4)
	v_add_f32_e32 v82, v41, v23
	v_mul_f32_e32 v23, 0x3f3d2fb0, v31
	v_dual_fmamk_f32 v40, v38, 0x3e3c28d5, v39 :: v_dual_add_f32 v83, v36, v11
	s_delay_alu instid0(VALU_DEP_1) | instskip(SKIP_2) | instid1(VALU_DEP_3)
	v_dual_fmamk_f32 v11, v38, 0xbf2c7751, v23 :: v_dual_add_f32 v80, v40, v8
	v_fmamk_f32 v8, v38, 0x3f06c442, v37
	v_fmac_f32_e32 v37, 0xbf06c442, v38
	v_dual_fmac_f32 v23, 0x3f2c7751, v38 :: v_dual_add_f32 v86, v11, v29
	s_delay_alu instid0(VALU_DEP_2) | instskip(SKIP_1) | instid1(VALU_DEP_3)
	v_dual_add_f32 v84, v8, v26 :: v_dual_add_f32 v85, v37, v9
	v_mul_f32_e32 v9, 0x3ee437d1, v31
	v_dual_mul_f32 v8, 0xbf1a4643, v31 :: v_dual_add_f32 v87, v23, v28
	v_mul_f32_e32 v23, 0xbe8c1d8e, v31
	s_delay_alu instid0(VALU_DEP_3) | instskip(NEXT) | instid1(VALU_DEP_1)
	v_fmamk_f32 v11, v38, 0xbf65296c, v9
	v_dual_fmac_f32 v9, 0x3f65296c, v38 :: v_dual_add_f32 v90, v11, v33
	v_fmac_f32_e32 v39, 0xbe3c28d5, v38
	s_delay_alu instid0(VALU_DEP_4) | instskip(SKIP_1) | instid1(VALU_DEP_4)
	v_fmamk_f32 v11, v38, 0x3f763a35, v23
	v_fmac_f32_e32 v23, 0xbf763a35, v38
	v_add_f32_e32 v91, v9, v24
	v_add_nc_u32_e32 v9, 0x200, v124
	v_add_f32_e32 v81, v39, v25
	v_fmamk_f32 v25, v38, 0x3f4c4adb, v8
	v_fmac_f32_e32 v8, 0xbf4c4adb, v38
	v_add_f32_e32 v93, v23, v34
	v_dual_add_f32 v92, v11, v35 :: v_dual_lshlrev_b32 v11, 2, v129
	s_delay_alu instid0(VALU_DEP_3) | instskip(SKIP_1) | instid1(VALU_DEP_3)
	v_dual_add_f32 v88, v25, v32 :: v_dual_add_f32 v89, v8, v30
	v_mul_f32_e32 v8, 0x3dbcf732, v31
	v_add3_u32 v79, 0, v11, v128
	s_delay_alu instid0(VALU_DEP_2) | instskip(SKIP_1) | instid1(VALU_DEP_2)
	v_fmamk_f32 v25, v38, 0xbf7ee86f, v8
	v_fmac_f32_e32 v8, 0x3f7ee86f, v38
	v_add_f32_e32 v94, v25, v27
	s_delay_alu instid0(VALU_DEP_2)
	v_add_f32_e32 v98, v8, v22
	v_lshlrev_b32_e32 v8, 2, v126
	ds_load_2addr_b32 v[26:27], v124 offset0:119 offset1:136
	ds_load_2addr_b32 v[22:23], v124 offset0:221 offset1:238
	;; [unrolled: 1-line block ×6, first 2 shown]
	v_lshlrev_b32_e32 v9, 2, v127
	v_add3_u32 v77, 0, v8, v128
	ds_load_2addr_b32 v[34:35], v124 offset0:153 offset1:170
	ds_load_2addr_b32 v[36:37], v48 offset0:135 offset1:152
	;; [unrolled: 1-line block ×4, first 2 shown]
	v_add3_u32 v78, 0, v9, v128
	ds_load_b32 v72, v100
	ds_load_b32 v73, v125
	;; [unrolled: 1-line block ×5, first 2 shown]
	ds_load_2addr_b32 v[46:47], v124 offset0:187 offset1:204
	ds_load_2addr_b32 v[44:45], v48 offset0:169 offset1:186
	;; [unrolled: 1-line block ×5, first 2 shown]
	global_wb scope:SCOPE_SE
	s_wait_dscnt 0x0
	s_barrier_signal -1
	s_barrier_wait -1
	global_inv scope:SCOPE_SE
	ds_store_2addr_b32 v140, v2, v102 offset1:7
	ds_store_2addr_b32 v140, v104, v105 offset0:14 offset1:21
	ds_store_2addr_b32 v140, v108, v109 offset0:28 offset1:35
	;; [unrolled: 1-line block ×7, first 2 shown]
	ds_store_b32 v140, v97 offset:448
	ds_store_2addr_b32 v141, v114, v80 offset1:7
	ds_store_2addr_b32 v141, v82, v84 offset0:14 offset1:21
	ds_store_2addr_b32 v141, v86, v88 offset0:28 offset1:35
	;; [unrolled: 1-line block ×7, first 2 shown]
	ds_store_b32 v141, v81 offset:448
	s_and_saveexec_b32 s1, s0
	s_cbranch_execz .LBB0_20
; %bb.19:
	v_dual_add_f32 v2, v0, v71 :: v_dual_add_f32 v71, v71, v65
	v_dual_sub_f32 v67, v67, v70 :: v_dual_add_f32 v70, v69, v13
	v_sub_f32_e32 v66, v66, v68
	s_delay_alu instid0(VALU_DEP_3) | instskip(SKIP_3) | instid1(VALU_DEP_4)
	v_dual_add_f32 v2, v2, v69 :: v_dual_mul_f32 v81, 0x3dbcf732, v71
	v_mul_f32_e32 v68, 0x3f6eb680, v71
	v_mul_f32_e32 v69, 0x3f3d2fb0, v71
	v_sub_f32_e32 v62, v62, v63
	v_dual_add_f32 v2, v2, v64 :: v_dual_mul_f32 v83, 0xbf1a4643, v71
	v_mul_f32_e32 v85, 0x3f3d2fb0, v70
	v_fmamk_f32 v89, v67, 0x3eb8f4ab, v68
	v_mul_f32_e32 v88, 0xbf7ba420, v70
	s_delay_alu instid0(VALU_DEP_4) | instskip(SKIP_3) | instid1(VALU_DEP_4)
	v_add_f32_e32 v2, v2, v15
	v_fmamk_f32 v94, v67, 0x3f4c4adb, v83
	v_fmac_f32_e32 v83, 0xbf4c4adb, v67
	v_dual_fmamk_f32 v90, v67, 0x3f2c7751, v69 :: v_dual_add_f32 v89, v0, v89
	v_dual_add_f32 v2, v2, v10 :: v_dual_fmac_f32 v69, 0xbf2c7751, v67
	v_fmac_f32_e32 v68, 0xbeb8f4ab, v67
	v_fmamk_f32 v99, v66, 0x3e3c28d5, v88
	v_fmac_f32_e32 v88, 0xbe3c28d5, v66
	s_delay_alu instid0(VALU_DEP_4) | instskip(SKIP_2) | instid1(VALU_DEP_3)
	v_add_f32_e32 v2, v2, v6
	v_dual_mul_f32 v80, 0x3ee437d1, v71 :: v_dual_add_f32 v69, v0, v69
	v_mul_f32_e32 v87, 0xbf1a4643, v70
	v_dual_add_f32 v15, v15, v21 :: v_dual_add_f32 v2, v2, v4
	s_delay_alu instid0(VALU_DEP_3) | instskip(SKIP_1) | instid1(VALU_DEP_3)
	v_dual_fmamk_f32 v91, v67, 0x3f65296c, v80 :: v_dual_sub_f32 v60, v60, v61
	v_dual_add_f32 v10, v10, v14 :: v_dual_sub_f32 v53, v59, v53
	v_add_f32_e32 v2, v2, v1
	s_delay_alu instid0(VALU_DEP_3) | instskip(SKIP_2) | instid1(VALU_DEP_4)
	v_dual_mul_f32 v86, 0x3dbcf732, v70 :: v_dual_add_f32 v91, v0, v91
	v_fmamk_f32 v92, v67, 0x3f7ee86f, v81
	v_fmac_f32_e32 v81, 0xbf7ee86f, v67
	v_add_f32_e32 v2, v2, v3
	s_delay_alu instid0(VALU_DEP_4) | instskip(SKIP_1) | instid1(VALU_DEP_4)
	v_fmamk_f32 v97, v66, 0x3f7ee86f, v86
	v_fmac_f32_e32 v86, 0xbf7ee86f, v66
	v_dual_mul_f32 v82, 0xbe8c1d8e, v71 :: v_dual_add_f32 v81, v0, v81
	s_delay_alu instid0(VALU_DEP_4) | instskip(NEXT) | instid1(VALU_DEP_2)
	v_dual_add_f32 v2, v2, v5 :: v_dual_add_f32 v83, v0, v83
	v_dual_add_f32 v90, v0, v90 :: v_dual_fmamk_f32 v93, v67, 0x3f763a35, v82
	v_mul_f32_e32 v84, 0xbf59a7d5, v71
	v_mul_f32_e32 v71, 0xbf7ba420, v71
	s_delay_alu instid0(VALU_DEP_4) | instskip(NEXT) | instid1(VALU_DEP_4)
	v_add_f32_e32 v2, v2, v7
	v_dual_fmac_f32 v80, 0xbf65296c, v67 :: v_dual_add_f32 v93, v0, v93
	s_delay_alu instid0(VALU_DEP_4)
	v_fmamk_f32 v95, v67, 0x3f06c442, v84
	v_dual_fmac_f32 v82, 0xbf763a35, v67 :: v_dual_add_f32 v81, v88, v81
	v_fmac_f32_e32 v84, 0xbf06c442, v67
	v_fmamk_f32 v96, v67, 0x3e3c28d5, v71
	v_fmac_f32_e32 v71, 0xbe3c28d5, v67
	v_dual_fmamk_f32 v67, v66, 0x3f2c7751, v85 :: v_dual_add_f32 v80, v0, v80
	v_add_f32_e32 v2, v2, v14
	v_dual_fmac_f32 v85, 0xbf2c7751, v66 :: v_dual_add_f32 v92, v0, v92
	s_delay_alu instid0(VALU_DEP_3) | instskip(SKIP_1) | instid1(VALU_DEP_4)
	v_dual_add_f32 v67, v67, v89 :: v_dual_add_f32 v68, v0, v68
	v_dual_fmamk_f32 v98, v66, 0x3f4c4adb, v87 :: v_dual_add_f32 v71, v0, v71
	v_dual_fmac_f32 v87, 0xbf4c4adb, v66 :: v_dual_add_f32 v2, v2, v21
	v_add_f32_e32 v82, v0, v82
	v_add_f32_e32 v95, v0, v95
	;; [unrolled: 1-line block ×5, first 2 shown]
	v_dual_add_f32 v96, v0, v96 :: v_dual_mul_f32 v89, 0x3ee437d1, v70
	v_add_f32_e32 v12, v64, v12
	v_add_f32_e32 v6, v6, v7
	s_delay_alu instid0(VALU_DEP_4) | instskip(SKIP_1) | instid1(VALU_DEP_4)
	v_add_f32_e32 v0, v2, v13
	v_dual_add_f32 v2, v85, v68 :: v_dual_mul_f32 v85, 0xbe8c1d8e, v70
	v_mul_f32_e32 v63, 0x3ee437d1, v12
	v_add_f32_e32 v80, v87, v80
	s_delay_alu instid0(VALU_DEP_4) | instskip(NEXT) | instid1(VALU_DEP_4)
	v_dual_add_f32 v0, v0, v65 :: v_dual_mul_f32 v65, 0xbf59a7d5, v70
	v_fmamk_f32 v88, v66, 0xbf763a35, v85
	v_fmac_f32_e32 v85, 0x3f763a35, v66
	v_mul_f32_e32 v70, 0x3f6eb680, v70
	s_delay_alu instid0(VALU_DEP_4) | instskip(SKIP_1) | instid1(VALU_DEP_4)
	v_dual_add_f32 v4, v4, v5 :: v_dual_fmamk_f32 v87, v66, 0xbf06c442, v65
	v_fmac_f32_e32 v65, 0x3f06c442, v66
	v_dual_add_f32 v83, v85, v83 :: v_dual_add_f32 v68, v86, v69
	v_add_f32_e32 v69, v98, v91
	v_fmamk_f32 v85, v66, 0xbeb8f4ab, v70
	s_delay_alu instid0(VALU_DEP_4)
	v_add_f32_e32 v65, v65, v82
	v_add_f32_e32 v82, v88, v94
	v_fmamk_f32 v88, v66, 0xbf65296c, v89
	v_fmac_f32_e32 v89, 0x3f65296c, v66
	v_add_f32_e32 v13, v97, v90
	v_add_f32_e32 v87, v87, v93
	s_delay_alu instid0(VALU_DEP_4) | instskip(SKIP_4) | instid1(VALU_DEP_4)
	v_dual_mul_f32 v5, 0x3ee437d1, v6 :: v_dual_add_f32 v64, v88, v95
	v_fmamk_f32 v88, v62, 0x3f65296c, v63
	v_dual_fmac_f32 v63, 0xbf65296c, v62 :: v_dual_add_f32 v84, v89, v84
	v_sub_f32_e32 v57, v57, v58
	v_sub_f32_e32 v55, v55, v56
	v_dual_add_f32 v67, v88, v67 :: v_dual_fmac_f32 v70, 0x3eb8f4ab, v66
	v_add_f32_e32 v66, v85, v96
	v_mul_f32_e32 v85, 0xbf1a4643, v12
	v_add_f32_e32 v86, v99, v92
	v_add_f32_e32 v2, v63, v2
	v_dual_mul_f32 v56, 0xbf59a7d5, v4 :: v_dual_add_f32 v1, v1, v3
	s_delay_alu instid0(VALU_DEP_4) | instskip(SKIP_2) | instid1(VALU_DEP_3)
	v_fmamk_f32 v89, v62, 0x3f4c4adb, v85
	v_dual_fmac_f32 v85, 0xbf4c4adb, v62 :: v_dual_add_f32 v70, v70, v71
	v_mul_f32_e32 v71, 0xbf7ba420, v12
	v_dual_sub_f32 v52, v54, v52 :: v_dual_add_f32 v13, v89, v13
	v_mul_f32_e32 v54, 0xbf7ba420, v1
	s_delay_alu instid0(VALU_DEP_3) | instskip(SKIP_1) | instid1(VALU_DEP_2)
	v_fmamk_f32 v63, v62, 0xbe3c28d5, v71
	v_fmac_f32_e32 v71, 0x3e3c28d5, v62
	v_add_f32_e32 v63, v63, v69
	v_mul_f32_e32 v69, 0x3f3d2fb0, v12
	v_add_f32_e32 v68, v85, v68
	s_delay_alu instid0(VALU_DEP_4) | instskip(NEXT) | instid1(VALU_DEP_3)
	v_add_f32_e32 v71, v71, v80
	v_fmamk_f32 v89, v62, 0xbf2c7751, v69
	v_fmac_f32_e32 v69, 0x3f2c7751, v62
	s_delay_alu instid0(VALU_DEP_2) | instskip(NEXT) | instid1(VALU_DEP_2)
	v_dual_mul_f32 v88, 0xbe8c1d8e, v12 :: v_dual_add_f32 v87, v89, v87
	v_add_f32_e32 v65, v69, v65
	s_delay_alu instid0(VALU_DEP_2) | instskip(SKIP_1) | instid1(VALU_DEP_2)
	v_fmamk_f32 v85, v62, 0xbf763a35, v88
	v_fmac_f32_e32 v88, 0x3f763a35, v62
	v_dual_mul_f32 v80, 0x3f6eb680, v12 :: v_dual_add_f32 v85, v85, v86
	s_delay_alu instid0(VALU_DEP_1) | instskip(SKIP_2) | instid1(VALU_DEP_3)
	v_dual_add_f32 v81, v88, v81 :: v_dual_fmamk_f32 v86, v62, 0x3eb8f4ab, v80
	v_mul_f32_e32 v69, 0x3dbcf732, v12
	v_mul_f32_e32 v12, 0xbf59a7d5, v12
	v_add_f32_e32 v82, v86, v82
	s_delay_alu instid0(VALU_DEP_3) | instskip(SKIP_2) | instid1(VALU_DEP_2)
	v_fmamk_f32 v21, v62, 0x3f7ee86f, v69
	v_fmac_f32_e32 v80, 0xbeb8f4ab, v62
	v_fmac_f32_e32 v69, 0xbf7ee86f, v62
	v_dual_add_f32 v21, v21, v64 :: v_dual_add_f32 v80, v80, v83
	v_fmamk_f32 v83, v62, 0x3f06c442, v12
	v_fmac_f32_e32 v12, 0xbf06c442, v62
	s_delay_alu instid0(VALU_DEP_4) | instskip(NEXT) | instid1(VALU_DEP_3)
	v_dual_add_f32 v62, v69, v84 :: v_dual_mul_f32 v61, 0x3dbcf732, v15
	v_dual_mul_f32 v69, 0xbf7ba420, v15 :: v_dual_add_f32 v64, v83, v66
	v_mul_f32_e32 v83, 0x3f6eb680, v15
	v_mul_f32_e32 v84, 0xbf1a4643, v15
	s_delay_alu instid0(VALU_DEP_4) | instskip(NEXT) | instid1(VALU_DEP_1)
	v_fmamk_f32 v66, v60, 0x3f7ee86f, v61
	v_dual_fmac_f32 v61, 0xbf7ee86f, v60 :: v_dual_add_f32 v66, v66, v67
	s_delay_alu instid0(VALU_DEP_1) | instskip(SKIP_1) | instid1(VALU_DEP_2)
	v_dual_fmamk_f32 v67, v60, 0x3e3c28d5, v69 :: v_dual_add_f32 v2, v61, v2
	v_fmac_f32_e32 v69, 0xbe3c28d5, v60
	v_add_f32_e32 v13, v67, v13
	s_delay_alu instid0(VALU_DEP_2) | instskip(SKIP_3) | instid1(VALU_DEP_3)
	v_dual_add_f32 v67, v69, v68 :: v_dual_add_f32 v12, v12, v70
	v_mul_f32_e32 v70, 0xbe8c1d8e, v15
	v_mul_f32_e32 v68, 0x3ee437d1, v15
	;; [unrolled: 1-line block ×3, first 2 shown]
	v_fmamk_f32 v61, v60, 0xbf763a35, v70
	s_delay_alu instid0(VALU_DEP_1) | instskip(SKIP_2) | instid1(VALU_DEP_2)
	v_add_f32_e32 v61, v61, v63
	v_fmamk_f32 v63, v60, 0xbeb8f4ab, v83
	v_fmac_f32_e32 v83, 0x3eb8f4ab, v60
	v_dual_add_f32 v63, v63, v85 :: v_dual_fmac_f32 v70, 0x3f763a35, v60
	s_delay_alu instid0(VALU_DEP_2) | instskip(NEXT) | instid1(VALU_DEP_2)
	v_add_f32_e32 v81, v83, v81
	v_add_f32_e32 v69, v70, v71
	v_fmamk_f32 v71, v60, 0x3f65296c, v68
	v_fmac_f32_e32 v68, 0xbf65296c, v60
	v_mul_f32_e32 v70, 0xbf59a7d5, v15
	v_mul_f32_e32 v15, 0x3f3d2fb0, v15
	s_delay_alu instid0(VALU_DEP_3) | instskip(NEXT) | instid1(VALU_DEP_3)
	v_add_f32_e32 v65, v68, v65
	v_fmamk_f32 v83, v60, 0x3f06c442, v70
	v_fmac_f32_e32 v70, 0xbf06c442, v60
	s_delay_alu instid0(VALU_DEP_2) | instskip(SKIP_1) | instid1(VALU_DEP_3)
	v_add_f32_e32 v68, v83, v82
	v_fmamk_f32 v82, v60, 0xbf4c4adb, v84
	v_add_f32_e32 v70, v70, v80
	s_delay_alu instid0(VALU_DEP_2) | instskip(NEXT) | instid1(VALU_DEP_1)
	v_dual_add_f32 v14, v82, v21 :: v_dual_fmamk_f32 v21, v60, 0xbf2c7751, v15
	v_add_f32_e32 v21, v21, v64
	v_fmamk_f32 v64, v53, 0x3f763a35, v59
	v_fmac_f32_e32 v84, 0x3f4c4adb, v60
	s_delay_alu instid0(VALU_DEP_2) | instskip(SKIP_3) | instid1(VALU_DEP_4)
	v_dual_add_f32 v64, v64, v66 :: v_dual_fmac_f32 v15, 0x3f2c7751, v60
	v_mul_f32_e32 v60, 0xbf59a7d5, v10
	v_mul_f32_e32 v66, 0x3ee437d1, v10
	v_mul_f32_e32 v58, 0xbf1a4643, v6
	v_add_f32_e32 v12, v15, v12
	s_delay_alu instid0(VALU_DEP_4) | instskip(SKIP_1) | instid1(VALU_DEP_1)
	v_dual_add_f32 v71, v71, v87 :: v_dual_fmamk_f32 v80, v53, 0xbf06c442, v60
	v_fmac_f32_e32 v60, 0x3f06c442, v53
	v_dual_mul_f32 v15, 0x3f3d2fb0, v10 :: v_dual_add_f32 v60, v60, v67
	v_fmac_f32_e32 v59, 0xbf763a35, v53
	s_delay_alu instid0(VALU_DEP_1) | instskip(SKIP_1) | instid1(VALU_DEP_2)
	v_dual_add_f32 v2, v59, v2 :: v_dual_fmamk_f32 v59, v53, 0xbf2c7751, v15
	v_fmac_f32_e32 v15, 0x3f2c7751, v53
	v_add_f32_e32 v59, v59, v61
	v_fmamk_f32 v67, v53, 0x3f65296c, v66
	s_delay_alu instid0(VALU_DEP_3) | instskip(SKIP_2) | instid1(VALU_DEP_4)
	v_add_f32_e32 v15, v15, v69
	v_mul_f32_e32 v69, 0x3dbcf732, v10
	v_mul_f32_e32 v61, 0xbf7ba420, v10
	v_add_f32_e32 v63, v67, v63
	s_delay_alu instid0(VALU_DEP_3) | instskip(NEXT) | instid1(VALU_DEP_1)
	v_fmamk_f32 v67, v53, 0xbf7ee86f, v69
	v_add_f32_e32 v67, v67, v68
	s_delay_alu instid0(VALU_DEP_4) | instskip(SKIP_1) | instid1(VALU_DEP_1)
	v_dual_add_f32 v13, v80, v13 :: v_dual_fmamk_f32 v80, v53, 0x3e3c28d5, v61
	v_dual_fmac_f32 v61, 0xbe3c28d5, v53 :: v_dual_add_f32 v62, v84, v62
	v_add_f32_e32 v61, v61, v65
	v_mul_f32_e32 v65, 0x3f6eb680, v10
	v_mul_f32_e32 v10, 0xbf1a4643, v10
	v_fmac_f32_e32 v66, 0xbf65296c, v53
	s_delay_alu instid0(VALU_DEP_3) | instskip(SKIP_1) | instid1(VALU_DEP_2)
	v_fmamk_f32 v7, v53, 0x3eb8f4ab, v65
	v_fmac_f32_e32 v65, 0xbeb8f4ab, v53
	v_dual_add_f32 v66, v66, v81 :: v_dual_add_f32 v7, v7, v14
	v_fmac_f32_e32 v69, 0x3f7ee86f, v53
	s_delay_alu instid0(VALU_DEP_3) | instskip(SKIP_2) | instid1(VALU_DEP_4)
	v_dual_add_f32 v71, v80, v71 :: v_dual_add_f32 v14, v65, v62
	v_mul_f32_e32 v62, 0xbe8c1d8e, v6
	v_mul_f32_e32 v65, 0xbf59a7d5, v6
	v_add_f32_e32 v68, v69, v70
	v_fmamk_f32 v69, v53, 0x3f4c4adb, v10
	s_delay_alu instid0(VALU_DEP_1) | instskip(SKIP_1) | instid1(VALU_DEP_1)
	v_add_f32_e32 v21, v69, v21
	v_fmac_f32_e32 v10, 0xbf4c4adb, v53
	v_dual_fmamk_f32 v53, v57, 0x3f4c4adb, v58 :: v_dual_add_f32 v10, v10, v12
	s_delay_alu instid0(VALU_DEP_1) | instskip(SKIP_2) | instid1(VALU_DEP_2)
	v_dual_mul_f32 v12, 0x3f6eb680, v6 :: v_dual_add_f32 v53, v53, v64
	v_fmac_f32_e32 v58, 0xbf4c4adb, v57
	v_fmamk_f32 v64, v57, 0xbf763a35, v62
	v_add_f32_e32 v2, v58, v2
	s_delay_alu instid0(VALU_DEP_2) | instskip(SKIP_1) | instid1(VALU_DEP_2)
	v_dual_fmamk_f32 v58, v57, 0x3eb8f4ab, v12 :: v_dual_add_f32 v13, v64, v13
	v_fmac_f32_e32 v62, 0x3f763a35, v57
	v_dual_add_f32 v58, v58, v59 :: v_dual_fmamk_f32 v59, v57, 0x3f06c442, v65
	s_delay_alu instid0(VALU_DEP_2) | instskip(NEXT) | instid1(VALU_DEP_1)
	v_dual_fmac_f32 v65, 0xbf06c442, v57 :: v_dual_add_f32 v60, v62, v60
	v_dual_add_f32 v59, v59, v63 :: v_dual_add_f32 v64, v65, v66
	v_fmamk_f32 v66, v57, 0xbf65296c, v5
	v_mul_f32_e32 v62, 0x3dbcf732, v6
	v_fmac_f32_e32 v5, 0x3f65296c, v57
	s_delay_alu instid0(VALU_DEP_3) | instskip(NEXT) | instid1(VALU_DEP_3)
	v_add_f32_e32 v21, v66, v21
	v_fmamk_f32 v63, v57, 0xbf7ee86f, v62
	s_delay_alu instid0(VALU_DEP_3) | instskip(NEXT) | instid1(VALU_DEP_1)
	v_dual_fmac_f32 v62, 0x3f7ee86f, v57 :: v_dual_add_f32 v5, v5, v10
	v_add_f32_e32 v61, v62, v61
	v_fmac_f32_e32 v12, 0xbeb8f4ab, v57
	v_mul_f32_e32 v62, 0xbf7ba420, v6
	s_delay_alu instid0(VALU_DEP_2) | instskip(NEXT) | instid1(VALU_DEP_2)
	v_dual_add_f32 v12, v12, v15 :: v_dual_mul_f32 v15, 0x3f3d2fb0, v6
	v_fmamk_f32 v6, v57, 0x3e3c28d5, v62
	v_fmac_f32_e32 v62, 0xbe3c28d5, v57
	s_delay_alu instid0(VALU_DEP_2) | instskip(NEXT) | instid1(VALU_DEP_2)
	v_add_f32_e32 v6, v6, v7
	v_dual_add_f32 v7, v62, v14 :: v_dual_fmamk_f32 v14, v55, 0x3f06c442, v56
	v_fmac_f32_e32 v56, 0xbf06c442, v55
	s_delay_alu instid0(VALU_DEP_2) | instskip(SKIP_1) | instid1(VALU_DEP_3)
	v_add_f32_e32 v10, v14, v53
	v_mul_f32_e32 v14, 0x3dbcf732, v4
	v_add_f32_e32 v2, v56, v2
	v_mul_f32_e32 v56, 0xbf1a4643, v4
	s_delay_alu instid0(VALU_DEP_3) | instskip(NEXT) | instid1(VALU_DEP_1)
	v_fmamk_f32 v62, v55, 0x3f7ee86f, v14
	v_add_f32_e32 v58, v62, v58
	v_mul_f32_e32 v62, 0x3f3d2fb0, v4
	v_fmamk_f32 v65, v57, 0x3f2c7751, v15
	v_fmac_f32_e32 v15, 0xbf2c7751, v57
	v_mul_f32_e32 v57, 0x3ee437d1, v4
	s_delay_alu instid0(VALU_DEP_2) | instskip(NEXT) | instid1(VALU_DEP_2)
	v_add_f32_e32 v15, v15, v68
	v_fmamk_f32 v53, v55, 0xbf65296c, v57
	v_fmac_f32_e32 v57, 0x3f65296c, v55
	s_delay_alu instid0(VALU_DEP_2) | instskip(NEXT) | instid1(VALU_DEP_2)
	v_add_f32_e32 v13, v53, v13
	v_dual_add_f32 v53, v57, v60 :: v_dual_fmac_f32 v14, 0xbf7ee86f, v55
	v_fmamk_f32 v57, v55, 0xbf4c4adb, v56
	v_mul_f32_e32 v60, 0x3f6eb680, v4
	v_fmac_f32_e32 v56, 0x3f4c4adb, v55
	s_delay_alu instid0(VALU_DEP_4) | instskip(NEXT) | instid1(VALU_DEP_3)
	v_add_f32_e32 v12, v14, v12
	v_dual_add_f32 v14, v57, v59 :: v_dual_fmamk_f32 v59, v55, 0x3eb8f4ab, v60
	v_fmac_f32_e32 v60, 0xbeb8f4ab, v55
	v_mul_f32_e32 v57, 0xbf7ba420, v4
	v_mul_f32_e32 v4, 0xbe8c1d8e, v4
	v_add_f32_e32 v56, v56, v64
	s_delay_alu instid0(VALU_DEP_4) | instskip(NEXT) | instid1(VALU_DEP_4)
	v_dual_add_f32 v60, v60, v61 :: v_dual_fmamk_f32 v61, v55, 0xbf2c7751, v62
	v_fmamk_f32 v64, v55, 0x3e3c28d5, v57
	v_fmac_f32_e32 v57, 0xbe3c28d5, v55
	v_fmac_f32_e32 v62, 0x3f2c7751, v55
	v_add_f32_e32 v63, v63, v71
	v_dual_add_f32 v3, v61, v6 :: v_dual_fmamk_f32 v6, v55, 0x3f763a35, v4
	v_fmac_f32_e32 v4, 0xbf763a35, v55
	v_fmamk_f32 v55, v52, 0x3e3c28d5, v54
	v_dual_fmac_f32 v54, 0xbe3c28d5, v52 :: v_dual_add_f32 v15, v57, v15
	s_delay_alu instid0(VALU_DEP_3) | instskip(NEXT) | instid1(VALU_DEP_2)
	v_dual_add_f32 v7, v62, v7 :: v_dual_add_f32 v4, v4, v5
	v_dual_mul_f32 v5, 0xbf59a7d5, v1 :: v_dual_add_f32 v2, v54, v2
	s_delay_alu instid0(VALU_DEP_4) | instskip(NEXT) | instid1(VALU_DEP_2)
	v_dual_add_f32 v10, v55, v10 :: v_dual_mul_f32 v55, 0x3f3d2fb0, v1
	v_dual_add_f32 v65, v65, v67 :: v_dual_fmamk_f32 v54, v52, 0x3f06c442, v5
	v_fmac_f32_e32 v5, 0xbf06c442, v52
	s_delay_alu instid0(VALU_DEP_1) | instskip(SKIP_2) | instid1(VALU_DEP_2)
	v_dual_add_f32 v5, v5, v12 :: v_dual_add_f32 v6, v6, v21
	v_mul_f32_e32 v21, 0x3f6eb680, v1
	v_mul_f32_e32 v12, 0x3ee437d1, v1
	v_fmamk_f32 v57, v52, 0xbeb8f4ab, v21
	s_delay_alu instid0(VALU_DEP_1) | instskip(SKIP_1) | instid1(VALU_DEP_1)
	v_add_f32_e32 v13, v57, v13
	v_fmamk_f32 v57, v52, 0xbf2c7751, v55
	v_dual_fmac_f32 v55, 0x3f2c7751, v52 :: v_dual_add_f32 v14, v57, v14
	s_delay_alu instid0(VALU_DEP_1) | instskip(SKIP_2) | instid1(VALU_DEP_2)
	v_dual_add_f32 v55, v55, v56 :: v_dual_fmamk_f32 v56, v52, 0xbf65296c, v12
	v_dual_fmac_f32 v12, 0x3f65296c, v52 :: v_dual_add_f32 v59, v59, v63
	v_add_f32_e32 v63, v64, v65
	v_dual_add_f32 v12, v12, v15 :: v_dual_fmac_f32 v21, 0x3eb8f4ab, v52
	v_add3_u32 v15, 0, v130, v128
	s_delay_alu instid0(VALU_DEP_2) | instskip(SKIP_1) | instid1(VALU_DEP_1)
	v_dual_add_f32 v56, v56, v63 :: v_dual_add_f32 v21, v21, v53
	v_dual_add_f32 v53, v54, v58 :: v_dual_mul_f32 v54, 0xbf1a4643, v1
	v_fmamk_f32 v58, v52, 0x3f4c4adb, v54
	s_delay_alu instid0(VALU_DEP_1) | instskip(SKIP_1) | instid1(VALU_DEP_2)
	v_dual_add_f32 v57, v58, v59 :: v_dual_mul_f32 v58, 0xbe8c1d8e, v1
	v_mul_f32_e32 v1, 0x3dbcf732, v1
	v_fmamk_f32 v59, v52, 0x3f763a35, v58
	s_delay_alu instid0(VALU_DEP_1) | instskip(NEXT) | instid1(VALU_DEP_1)
	v_dual_fmac_f32 v58, 0xbf763a35, v52 :: v_dual_add_f32 v3, v59, v3
	v_dual_fmac_f32 v54, 0xbf4c4adb, v52 :: v_dual_add_f32 v7, v58, v7
	v_add_nc_u32_e32 v58, 0x800, v15
	s_delay_alu instid0(VALU_DEP_2) | instskip(SKIP_3) | instid1(VALU_DEP_2)
	v_add_f32_e32 v54, v54, v60
	v_fmamk_f32 v60, v52, 0xbf7ee86f, v1
	v_fmac_f32_e32 v1, 0x3f7ee86f, v52
	v_add_nc_u32_e32 v52, 0x400, v15
	v_dual_add_f32 v6, v60, v6 :: v_dual_add_f32 v1, v1, v4
	ds_store_2addr_b32 v52, v0, v10 offset0:220 offset1:227
	ds_store_2addr_b32 v52, v13, v53 offset0:234 offset1:241
	ds_store_2addr_b32 v52, v14, v57 offset0:248 offset1:255
	ds_store_2addr_b32 v58, v56, v3 offset0:6 offset1:13
	ds_store_2addr_b32 v58, v6, v1 offset0:20 offset1:27
	ds_store_2addr_b32 v58, v7, v12 offset0:34 offset1:41
	ds_store_2addr_b32 v58, v54, v55 offset0:48 offset1:55
	ds_store_2addr_b32 v58, v5, v21 offset0:62 offset1:69
	ds_store_b32 v15, v2 offset:2352
.LBB0_20:
	s_wait_alu 0xfffe
	s_or_b32 exec_lo, exec_lo, s1
	global_wb scope:SCOPE_SE
	s_wait_dscnt 0x0
	s_barrier_signal -1
	s_barrier_wait -1
	global_inv scope:SCOPE_SE
	s_and_saveexec_b32 s0, vcc_lo
	s_cbranch_execz .LBB0_22
; %bb.21:
	v_dual_mov_b32 v53, 0 :: v_dual_add_nc_u32 v52, 0x198, v20
	v_mul_lo_u32 v71, s3, v18
	v_mul_lo_u32 v96, s2, v19
	v_mad_co_u64_u32 v[64:65], null, s2, v18, 0
	s_delay_alu instid0(VALU_DEP_4) | instskip(SKIP_3) | instid1(VALU_DEP_4)
	v_lshlrev_b64_e32 v[0:1], 3, v[52:53]
	v_add_nc_u32_e32 v52, 0x154, v20
	v_dual_mov_b32 v10, v53 :: v_dual_mov_b32 v21, v53
	v_dual_mov_b32 v12, v53 :: v_dual_add_nc_u32 v97, 0x800, v124
	v_add_co_u32 v0, vcc_lo, s8, v0
	s_delay_alu instid0(VALU_DEP_3)
	v_lshlrev_b64_e32 v[62:63], 3, v[9:10]
	v_mov_b32_e32 v9, v53
	v_lshlrev_b64_e32 v[13:14], 3, v[52:53]
	v_lshlrev_b64_e32 v[11:12], 3, v[11:12]
	s_wait_alu 0xfffd
	v_add_co_ci_u32_e32 v1, vcc_lo, s9, v1, vcc_lo
	s_clause 0x1
	global_load_b128 v[4:7], v[0:1], off offset:896
	global_load_b128 v[0:3], v[0:1], off offset:912
	v_add_co_u32 v13, vcc_lo, s8, v13
	s_wait_alu 0xfffd
	v_add_co_ci_u32_e32 v14, vcc_lo, s9, v14, vcc_lo
	v_add_co_u32 v11, vcc_lo, s8, v11
	s_wait_alu 0xfffd
	v_add_co_ci_u32_e32 v12, vcc_lo, s9, v12, vcc_lo
	v_lshlrev_b64_e32 v[8:9], 3, v[8:9]
	s_clause 0x1
	global_load_b128 v[54:57], v[13:14], off offset:896
	global_load_b128 v[58:61], v[13:14], off offset:912
	v_add_co_u32 v13, vcc_lo, s8, v62
	s_clause 0x1
	global_load_b128 v[80:83], v[11:12], off offset:896
	global_load_b128 v[84:87], v[11:12], off offset:912
	s_wait_alu 0xfffd
	v_add_co_ci_u32_e32 v14, vcc_lo, s9, v63, vcc_lo
	v_add_co_u32 v8, vcc_lo, s8, v8
	s_clause 0x1
	global_load_b128 v[88:91], v[13:14], off offset:912
	global_load_b128 v[92:95], v[13:14], off offset:896
	s_wait_alu 0xfffd
	v_add_co_ci_u32_e32 v9, vcc_lo, s9, v9, vcc_lo
	s_clause 0x1
	global_load_b128 v[12:15], v[8:9], off offset:896
	global_load_b128 v[8:11], v[8:9], off offset:912
	ds_load_2addr_b32 v[66:67], v124 offset0:221 offset1:238
	v_lshlrev_b32_e32 v52, 2, v123
	v_lshlrev_b64_e32 v[20:21], 3, v[20:21]
	v_add_nc_u32_e32 v70, 0x400, v124
	v_add_nc_u32_e32 v98, 0x200, v124
	ds_load_2addr_b32 v[18:19], v124 offset0:85 offset1:102
	ds_load_2addr_b32 v[62:63], v124 offset0:187 offset1:204
	;; [unrolled: 1-line block ×3, first 2 shown]
	v_lshlrev_b64_e32 v[52:53], 3, v[52:53]
	ds_load_2addr_b32 v[113:114], v70 offset0:67 offset1:84
	ds_load_2addr_b32 v[115:116], v97 offset0:49 offset1:66
	v_add_co_u32 v20, vcc_lo, s8, v20
	s_wait_alu 0xfffd
	v_add_co_ci_u32_e32 v21, vcc_lo, s9, v21, vcc_lo
	v_add_co_u32 v52, vcc_lo, s8, v52
	s_wait_alu 0xfffd
	v_add_co_ci_u32_e32 v53, vcc_lo, s9, v53, vcc_lo
	ds_load_2addr_b32 v[117:118], v70 offset0:203 offset1:220
	ds_load_2addr_b32 v[119:120], v70 offset0:169 offset1:186
	;; [unrolled: 1-line block ×7, first 2 shown]
	v_add3_u32 v65, v65, v96, v71
	s_clause 0x3
	global_load_b128 v[96:99], v[20:21], off offset:912
	global_load_b128 v[101:104], v[20:21], off offset:896
	;; [unrolled: 1-line block ×4, first 2 shown]
	v_lshlrev_b64_e32 v[16:17], 3, v[16:17]
	ds_load_b32 v77, v77
	v_lshlrev_b64_e32 v[64:65], 3, v[64:65]
	s_wait_loadcnt_dscnt 0xc08
	v_dual_mul_f32 v20, v22, v5 :: v_dual_mul_f32 v71, v116, v3
	v_mul_f32_e32 v21, v49, v7
	s_wait_dscnt 0x7
	v_dual_mul_f32 v52, v51, v3 :: v_dual_mul_f32 v121, v117, v1
	v_mul_f32_e32 v53, v28, v1
	v_mul_f32_e32 v5, v66, v5
	;; [unrolled: 1-line block ×3, first 2 shown]
	v_fma_f32 v1, v66, v4, -v20
	v_fma_f32 v20, v114, v6, -v21
	;; [unrolled: 1-line block ×4, first 2 shown]
	v_fmac_f32_e32 v5, v22, v4
	s_wait_loadcnt 0xa
	v_dual_fmac_f32 v71, v51, v2 :: v_dual_mul_f32 v4, v45, v59
	v_dual_fmac_f32 v121, v28, v0 :: v_dual_mul_f32 v22, v115, v61
	v_mul_f32_e32 v0, v47, v55
	v_dual_mul_f32 v2, v48, v57 :: v_dual_fmac_f32 v7, v49, v6
	v_dual_mul_f32 v6, v63, v55 :: v_dual_mul_f32 v3, v50, v61
	s_wait_loadcnt_dscnt 0x804
	v_mul_f32_e32 v66, v129, v87
	v_dual_mul_f32 v28, v113, v57 :: v_dual_mul_f32 v53, v120, v59
	s_wait_loadcnt 0x7
	v_dual_mul_f32 v55, v43, v87 :: v_dual_mul_f32 v114, v37, v89
	v_dual_mul_f32 v57, v44, v85 :: v_dual_sub_f32 v140, v5, v71
	v_dual_mul_f32 v49, v46, v81 :: v_dual_sub_f32 v138, v21, v52
	s_wait_loadcnt 0x5
	v_dual_mul_f32 v51, v41, v83 :: v_dual_mul_f32 v116, v34, v13
	v_dual_mul_f32 v59, v62, v81 :: v_dual_sub_f32 v142, v5, v7
	s_wait_loadcnt 0x4
	v_dual_mul_f32 v61, v127, v83 :: v_dual_mul_f32 v136, v36, v9
	v_dual_mul_f32 v81, v119, v85 :: v_dual_sub_f32 v146, v20, v52
	v_dual_mul_f32 v83, v35, v93 :: v_dual_add_f32 v152, v5, v71
	v_dual_mul_f32 v85, v40, v95 :: v_dual_add_f32 v144, v7, v121
	v_dual_mul_f32 v87, v42, v91 :: v_dual_sub_f32 v148, v52, v21
	v_dual_mul_f32 v93, v69, v93 :: v_dual_fmac_f32 v6, v47, v54
	v_dual_mul_f32 v91, v128, v91 :: v_dual_sub_f32 v150, v7, v5
	v_dual_mul_f32 v95, v126, v95 :: v_dual_fmac_f32 v28, v48, v56
	v_fma_f32 v63, v63, v54, -v0
	v_fma_f32 v113, v113, v56, -v2
	;; [unrolled: 1-line block ×3, first 2 shown]
	v_add_f32_e32 v149, v1, v21
	v_fma_f32 v120, v120, v58, -v4
	v_fma_f32 v47, v119, v84, -v57
	v_fmac_f32_e32 v53, v45, v58
	v_fma_f32 v58, v129, v86, -v55
	s_wait_dscnt 0x3
	v_dual_mul_f32 v89, v131, v89 :: v_dual_fmac_f32 v22, v50, v60
	v_dual_mul_f32 v123, v33, v11 :: v_dual_fmac_f32 v66, v43, v86
	v_dual_add_f32 v5, v39, v5 :: v_dual_sub_f32 v50, v113, v63
	v_sub_f32_e32 v141, v7, v121
	v_fma_f32 v4, v62, v80, -v49
	v_dual_fmac_f32 v81, v44, v84 :: v_dual_add_f32 v62, v63, v18
	v_add_f32_e32 v54, v63, v115
	v_fma_f32 v3, -0.5, v149, v19
	ds_load_b32 v60, v79
	v_fmac_f32_e32 v61, v41, v82
	v_fma_f32 v41, v69, v92, -v83
	v_fma_f32 v69, v128, v90, -v87
	v_fmac_f32_e32 v91, v42, v90
	v_sub_f32_e32 v90, v58, v47
	v_dual_sub_f32 v151, v121, v71 :: v_dual_sub_f32 v86, v28, v53
	v_add_f32_e32 v139, v20, v52
	v_dual_add_f32 v153, v1, v19 :: v_dual_sub_f32 v48, v22, v53
	v_dual_fmac_f32 v59, v46, v80 :: v_dual_sub_f32 v56, v53, v22
	v_fma_f32 v46, v131, v88, -v114
	v_dual_sub_f32 v143, v71, v121 :: v_dual_sub_f32 v44, v6, v28
	v_sub_f32_e32 v137, v1, v20
	v_sub_f32_e32 v145, v1, v21
	;; [unrolled: 1-line block ×3, first 2 shown]
	v_fma_f32 v45, v127, v82, -v51
	v_dual_fmac_f32 v89, v37, v88 :: v_dual_add_f32 v84, v150, v151
	v_fma_f32 v1, -0.5, v139, v19
	s_delay_alu instid0(VALU_DEP_3)
	v_dual_add_f32 v19, v20, v153 :: v_dual_sub_f32 v128, v45, v4
	v_add_f32_e32 v20, v5, v7
	v_dual_sub_f32 v87, v63, v115 :: v_dual_sub_f32 v156, v46, v69
	v_sub_f32_e32 v88, v113, v120
	v_fmamk_f32 v7, v141, 0xbf737871, v3
	v_fmac_f32_e32 v3, 0x3f737871, v141
	v_add_f32_e32 v83, v147, v148
	v_fma_f32 v43, v126, v94, -v85
	s_delay_alu instid0(VALU_DEP_4) | instskip(NEXT) | instid1(VALU_DEP_4)
	v_dual_sub_f32 v126, v4, v58 :: v_dual_fmac_f32 v7, 0x3f167918, v140
	v_fmac_f32_e32 v3, 0xbf167918, v140
	v_dual_mul_f32 v117, v31, v15 :: v_dual_add_f32 v42, v113, v120
	v_dual_fmac_f32 v93, v35, v92 :: v_dual_add_f32 v92, v45, v47
	s_delay_alu instid0(VALU_DEP_4) | instskip(NEXT) | instid1(VALU_DEP_4)
	v_fmac_f32_e32 v7, 0x3e9e377a, v83
	v_fmac_f32_e32 v3, 0x3e9e377a, v83
	ds_load_b32 v83, v100
	ds_load_b32 v78, v78
	v_add_f32_e32 v82, v142, v143
	v_fma_f32 v0, -0.5, v144, v39
	v_fma_f32 v2, -0.5, v152, v39
	s_wait_dscnt 0x2
	v_dual_sub_f32 v39, v63, v113 :: v_dual_add_f32 v142, v4, v60
	v_dual_fmac_f32 v95, v40, v94 :: v_dual_sub_f32 v40, v115, v120
	v_dual_sub_f32 v114, v61, v81 :: v_dual_add_f32 v63, v38, v6
	v_add_f32_e32 v160, v93, v91
	v_add_f32_e32 v119, v61, v81
	v_fma_f32 v37, v68, v12, -v116
	v_fma_f32 v80, v133, v14, -v117
	v_dual_sub_f32 v85, v6, v22 :: v_dual_sub_f32 v148, v93, v91
	v_dual_add_f32 v49, v28, v53 :: v_dual_sub_f32 v144, v69, v46
	v_dual_sub_f32 v51, v120, v115 :: v_dual_sub_f32 v154, v43, v46
	v_dual_sub_f32 v79, v4, v45 :: v_dual_sub_f32 v94, v59, v66
	v_dual_sub_f32 v116, v59, v61 :: v_dual_add_f32 v35, v137, v138
	v_dual_add_f32 v152, v95, v89 :: v_dual_sub_f32 v55, v28, v6
	v_dual_sub_f32 v150, v93, v95 :: v_dual_add_f32 v57, v6, v22
	v_sub_f32_e32 v158, v95, v93
	v_sub_f32_e32 v117, v66, v81
	v_dual_sub_f32 v127, v45, v47 :: v_dual_add_f32 v20, v20, v121
	v_sub_f32_e32 v129, v47, v58
	v_dual_add_f32 v131, v4, v58 :: v_dual_add_f32 v164, v55, v56
	v_dual_sub_f32 v137, v61, v59 :: v_dual_add_f32 v162, v44, v48
	v_sub_f32_e32 v138, v81, v66
	v_dual_sub_f32 v143, v41, v43 :: v_dual_add_f32 v28, v63, v28
	v_sub_f32_e32 v149, v95, v89
	s_wait_dscnt 0x0
	v_add_f32_e32 v161, v41, v78
	v_fmamk_f32 v4, v145, 0x3f737871, v0
	v_dual_add_f32 v157, v41, v69 :: v_dual_fmamk_f32 v6, v146, 0x3f737871, v2
	v_dual_sub_f32 v159, v89, v91 :: v_dual_fmac_f32 v2, 0xbf737871, v146
	v_add_f32_e32 v139, v59, v66
	v_dual_add_f32 v59, v76, v59 :: v_dual_add_f32 v44, v113, v62
	v_dual_fmac_f32 v0, 0xbf737871, v145 :: v_dual_add_f32 v147, v43, v46
	v_fma_f32 v48, -0.5, v119, v76
	v_add_f32_e32 v121, v39, v40
	v_fma_f32 v39, -0.5, v54, v18
	v_add_f32_e32 v54, v45, v142
	v_sub_f32_e32 v153, v41, v69
	v_dual_add_f32 v93, v75, v93 :: v_dual_fmac_f32 v0, 0xbf167918, v146
	v_fma_f32 v40, -0.5, v49, v38
	v_fmamk_f32 v5, v140, 0xbf737871, v1
	v_dual_fmac_f32 v1, 0x3f737871, v140 :: v_dual_add_f32 v28, v28, v53
	v_fma_f32 v38, -0.5, v57, v38
	v_add_f32_e32 v163, v50, v51
	v_fma_f32 v49, -0.5, v92, v60
	v_add_f32_e32 v92, v128, v129
	;; [unrolled: 2-line block ×3, first 2 shown]
	v_fma_f32 v63, -0.5, v147, v78
	v_fma_f32 v62, -0.5, v152, v75
	;; [unrolled: 1-line block ×3, first 2 shown]
	v_fmac_f32_e32 v4, 0x3f167918, v146
	v_fma_f32 v61, -0.5, v157, v78
	v_fmac_f32_e32 v6, 0xbf167918, v145
	v_dual_sub_f32 v151, v91, v89 :: v_dual_add_f32 v78, v158, v159
	v_sub_f32_e32 v155, v43, v41
	v_fma_f32 v41, -0.5, v42, v18
	v_add_f32_e32 v18, v71, v20
	v_dual_add_f32 v59, v43, v161 :: v_dual_fmamk_f32 v56, v154, 0xbf737871, v60
	v_dual_add_f32 v75, v47, v54 :: v_dual_fmac_f32 v6, 0x3e9e377a, v84
	v_dual_add_f32 v19, v52, v19 :: v_dual_fmac_f32 v2, 0x3f167918, v145
	v_dual_add_f32 v79, v79, v90 :: v_dual_add_f32 v90, v116, v117
	v_fma_f32 v50, -0.5, v139, v76
	v_add_f32_e32 v76, v143, v144
	v_dual_add_f32 v116, v150, v151 :: v_dual_add_f32 v117, v155, v156
	v_fmamk_f32 v54, v153, 0x3f737871, v62
	v_dual_fmamk_f32 v20, v87, 0x3f737871, v40 :: v_dual_add_f32 v71, v120, v44
	v_fmac_f32_e32 v4, 0x3e9e377a, v82
	v_fmac_f32_e32 v40, 0xbf737871, v87
	;; [unrolled: 1-line block ×3, first 2 shown]
	v_fmamk_f32 v44, v126, 0x3f737871, v48
	v_dual_fmac_f32 v48, 0xbf737871, v126 :: v_dual_add_f32 v81, v55, v81
	v_dual_fmac_f32 v2, 0x3e9e377a, v84 :: v_dual_add_f32 v119, v46, v59
	v_fmac_f32_e32 v0, 0x3e9e377a, v82
	v_add_f32_e32 v46, v22, v28
	v_dual_add_f32 v59, v58, v75 :: v_dual_fmac_f32 v54, 0x3f167918, v154
	v_fma_f32 v22, v135, v10, -v123
	v_fma_f32 v28, v130, v8, -v136
	v_mul_f32_e32 v75, v133, v15
	v_fmamk_f32 v43, v86, 0x3f737871, v39
	v_dual_fmac_f32 v39, 0xbf737871, v86 :: v_dual_add_f32 v58, v66, v81
	s_delay_alu instid0(VALU_DEP_3)
	v_dual_mul_f32 v66, v68, v13 :: v_dual_fmac_f32 v75, v31, v14
	v_fmamk_f32 v55, v148, 0xbf737871, v63
	v_sub_f32_e32 v13, v22, v28
	v_fmac_f32_e32 v63, 0x3f737871, v148
	v_dual_add_f32 v19, v21, v19 :: v_dual_fmac_f32 v60, 0x3f737871, v154
	v_dual_fmamk_f32 v21, v85, 0xbf737871, v41 :: v_dual_fmac_f32 v62, 0xbf737871, v153
	v_fmac_f32_e32 v55, 0xbf167918, v149
	s_delay_alu instid0(VALU_DEP_4)
	v_fmac_f32_e32 v63, 0x3f167918, v149
	v_fmamk_f32 v53, v114, 0x3f737871, v51
	v_fmac_f32_e32 v51, 0xbf737871, v114
	v_fmac_f32_e32 v62, 0xbf167918, v154
	;; [unrolled: 1-line block ×3, first 2 shown]
	v_dual_fmac_f32 v63, 0x3e9e377a, v76 :: v_dual_mul_f32 v76, v130, v9
	v_dual_add_f32 v113, v137, v138 :: v_dual_fmamk_f32 v52, v127, 0xbf737871, v50
	v_fmamk_f32 v45, v94, 0xbf737871, v49
	v_add_f32_e32 v47, v115, v71
	s_delay_alu instid0(VALU_DEP_4) | instskip(SKIP_2) | instid1(VALU_DEP_3)
	v_dual_mul_f32 v71, v135, v11 :: v_dual_fmac_f32 v76, v36, v8
	v_dual_fmac_f32 v51, 0x3f167918, v94 :: v_dual_sub_f32 v68, v80, v28
	v_add_f32_e32 v8, v93, v95
	v_dual_fmac_f32 v71, v33, v10 :: v_dual_add_f32 v10, v75, v76
	v_sub_f32_e32 v33, v37, v22
	v_dual_fmac_f32 v1, 0x3f167918, v141 :: v_dual_fmac_f32 v20, 0x3f167918, v88
	v_dual_fmac_f32 v41, 0x3f737871, v85 :: v_dual_fmac_f32 v66, v34, v12
	s_delay_alu instid0(VALU_DEP_4) | instskip(SKIP_2) | instid1(VALU_DEP_3)
	v_fma_f32 v10, -0.5, v10, v74
	v_dual_fmac_f32 v49, 0x3f737871, v94 :: v_dual_sub_f32 v12, v37, v80
	v_add_f32_e32 v9, v80, v28
	v_dual_add_f32 v15, v8, v89 :: v_dual_fmamk_f32 v8, v33, 0x3f737871, v10
	v_fmac_f32_e32 v10, 0xbf737871, v33
	v_dual_fmamk_f32 v57, v149, 0x3f737871, v61 :: v_dual_sub_f32 v14, v75, v76
	v_dual_fmac_f32 v5, 0x3e9e377a, v35 :: v_dual_fmac_f32 v20, 0x3e9e377a, v162
	v_dual_fmac_f32 v21, 0xbf167918, v86 :: v_dual_fmac_f32 v40, 0xbf167918, v88
	v_fmac_f32_e32 v1, 0x3e9e377a, v35
	v_dual_fmac_f32 v39, 0x3f167918, v85 :: v_dual_fmac_f32 v44, 0x3f167918, v127
	v_dual_add_f32 v35, v69, v119 :: v_dual_add_f32 v12, v12, v13
	v_sub_f32_e32 v13, v66, v75
	v_dual_add_f32 v69, v37, v22 :: v_dual_fmac_f32 v10, 0xbf167918, v68
	v_dual_fmac_f32 v61, 0xbf737871, v149 :: v_dual_sub_f32 v36, v71, v76
	v_dual_fmac_f32 v45, 0xbf167918, v114 :: v_dual_fmac_f32 v48, 0xbf167918, v127
	v_dual_fmac_f32 v49, 0x3f167918, v114 :: v_dual_add_f32 v34, v91, v15
	s_delay_alu instid0(VALU_DEP_3)
	v_add_f32_e32 v36, v13, v36
	v_fma_f32 v13, -0.5, v69, v77
	v_sub_f32_e32 v69, v80, v37
	v_add_f32_e32 v37, v37, v77
	v_fma_f32 v11, -0.5, v9, v77
	v_sub_f32_e32 v31, v66, v71
	v_fmac_f32_e32 v50, 0x3f737871, v127
	v_dual_fmac_f32 v41, 0x3f167918, v86 :: v_dual_fmac_f32 v56, 0x3f167918, v153
	v_add_f32_e32 v77, v80, v37
	v_fmac_f32_e32 v45, 0x3e9e377a, v79
	v_fmac_f32_e32 v51, 0x3e9e377a, v92
	v_dual_fmac_f32 v49, 0x3e9e377a, v79 :: v_dual_fmac_f32 v62, 0x3e9e377a, v116
	v_sub_f32_e32 v79, v28, v22
	v_dual_add_f32 v28, v28, v77 :: v_dual_fmamk_f32 v9, v31, 0xbf737871, v11
	v_fmac_f32_e32 v11, 0x3f737871, v31
	v_fmac_f32_e32 v57, 0xbf167918, v148
	;; [unrolled: 1-line block ×3, first 2 shown]
	s_delay_alu instid0(VALU_DEP_4) | instskip(NEXT) | instid1(VALU_DEP_4)
	v_dual_add_f32 v28, v22, v28 :: v_dual_fmac_f32 v9, 0xbf167918, v14
	v_fmac_f32_e32 v11, 0x3f167918, v14
	v_fmamk_f32 v15, v14, 0x3f737871, v13
	v_fmac_f32_e32 v13, 0xbf737871, v14
	v_fmac_f32_e32 v8, 0x3e9e377a, v36
	;; [unrolled: 1-line block ×3, first 2 shown]
	v_dual_fmac_f32 v11, 0x3e9e377a, v12 :: v_dual_add_f32 v12, v66, v71
	v_dual_fmac_f32 v57, 0x3e9e377a, v117 :: v_dual_fmac_f32 v10, 0x3e9e377a, v36
	ds_load_2addr_b32 v[36:37], v124 offset0:119 offset1:136
	v_sub_f32_e32 v81, v76, v71
	v_fma_f32 v12, -0.5, v12, v74
	v_dual_fmac_f32 v53, 0xbf167918, v94 :: v_dual_fmac_f32 v60, 0xbf167918, v153
	v_fmac_f32_e32 v56, 0x3e9e377a, v78
	v_fmamk_f32 v42, v88, 0xbf737871, v38
	s_delay_alu instid0(VALU_DEP_4) | instskip(SKIP_4) | instid1(VALU_DEP_4)
	v_fmamk_f32 v14, v68, 0xbf737871, v12
	v_dual_fmac_f32 v61, 0x3f167918, v148 :: v_dual_sub_f32 v80, v75, v66
	v_fmac_f32_e32 v12, 0x3f737871, v68
	v_fmac_f32_e32 v15, 0xbf167918, v31
	;; [unrolled: 1-line block ×4, first 2 shown]
	v_add_f32_e32 v31, v80, v81
	v_fmac_f32_e32 v14, 0x3f167918, v33
	v_dual_fmac_f32 v12, 0xbf167918, v33 :: v_dual_add_f32 v33, v74, v66
	s_wait_loadcnt 0x1
	v_mul_f32_e32 v66, v32, v108
	v_mul_f32_e32 v80, v134, v108
	v_fmac_f32_e32 v14, 0x3e9e377a, v31
	v_fmac_f32_e32 v12, 0x3e9e377a, v31
	s_wait_loadcnt 0x0
	v_dual_add_f32 v22, v33, v75 :: v_dual_mul_f32 v31, v27, v110
	v_fma_f32 v66, v134, v107, -v66
	v_dual_fmac_f32 v80, v32, v107 :: v_dual_fmac_f32 v53, 0x3e9e377a, v92
	v_fmac_f32_e32 v60, 0x3e9e377a, v78
	s_delay_alu instid0(VALU_DEP_4)
	v_add_f32_e32 v22, v22, v76
	s_wait_dscnt 0x0
	v_fma_f32 v76, v37, v109, -v31
	v_add_f32_e32 v79, v69, v79
	ds_load_2addr_b32 v[68:69], v70 offset0:101 offset1:118
	ds_load_b32 v78, v125
	v_mul_f32_e32 v70, v25, v106
	v_sub_f32_e32 v84, v76, v66
	v_mul_f32_e32 v37, v37, v110
	v_fmac_f32_e32 v13, 0x3e9e377a, v79
	v_fmac_f32_e32 v38, 0x3f737871, v88
	;; [unrolled: 1-line block ×3, first 2 shown]
	v_dual_fmac_f32 v43, 0xbf167918, v85 :: v_dual_fmac_f32 v50, 0xbf167918, v126
	v_fmac_f32_e32 v37, v27, v109
	s_delay_alu instid0(VALU_DEP_4) | instskip(SKIP_1) | instid1(VALU_DEP_3)
	v_dual_add_f32 v27, v71, v22 :: v_dual_fmac_f32 v38, 0xbf167918, v87
	v_dual_fmac_f32 v21, 0x3e9e377a, v121 :: v_dual_fmac_f32 v48, 0x3e9e377a, v90
	v_add_f32_e32 v88, v37, v80
	v_dual_fmac_f32 v44, 0x3e9e377a, v90 :: v_dual_fmac_f32 v41, 0x3e9e377a, v121
	v_dual_fmac_f32 v54, 0x3e9e377a, v116 :: v_dual_fmac_f32 v39, 0x3e9e377a, v163
	v_fmac_f32_e32 v50, 0x3e9e377a, v113
	s_wait_dscnt 0x1
	v_mul_f32_e32 v82, v69, v106
	v_fmac_f32_e32 v52, 0x3f167918, v126
	v_dual_fmac_f32 v43, 0x3e9e377a, v163 :: v_dual_fmac_f32 v38, 0x3e9e377a, v164
	v_fmac_f32_e32 v40, 0x3e9e377a, v162
	s_delay_alu instid0(VALU_DEP_4) | instskip(NEXT) | instid1(VALU_DEP_4)
	v_fmac_f32_e32 v82, v25, v105
	v_dual_fmac_f32 v52, 0x3e9e377a, v113 :: v_dual_sub_f32 v25, v37, v80
	v_mul_f32_e32 v81, v132, v112
	v_fmac_f32_e32 v42, 0x3e9e377a, v164
	s_delay_alu instid0(VALU_DEP_2) | instskip(NEXT) | instid1(VALU_DEP_1)
	v_dual_sub_f32 v74, v80, v82 :: v_dual_fmac_f32 v81, v30, v111
	v_dual_sub_f32 v22, v81, v82 :: v_dual_mul_f32 v33, v30, v112
	s_delay_alu instid0(VALU_DEP_1) | instskip(SKIP_2) | instid1(VALU_DEP_3)
	v_fma_f32 v77, v132, v111, -v33
	v_fmac_f32_e32 v15, 0x3e9e377a, v79
	v_fma_f32 v79, v69, v105, -v70
	v_sub_f32_e32 v86, v77, v76
	v_sub_f32_e32 v30, v76, v77
	s_delay_alu instid0(VALU_DEP_3) | instskip(SKIP_1) | instid1(VALU_DEP_2)
	v_dual_sub_f32 v32, v66, v79 :: v_dual_sub_f32 v87, v79, v66
	v_sub_f32_e32 v85, v77, v79
	v_dual_add_f32 v71, v30, v32 :: v_dual_add_f32 v30, v76, v66
	s_delay_alu instid0(VALU_DEP_3) | instskip(SKIP_1) | instid1(VALU_DEP_2)
	v_add_f32_e32 v86, v86, v87
	s_wait_dscnt 0x0
	v_fma_f32 v70, -0.5, v30, v78
	s_delay_alu instid0(VALU_DEP_1) | instskip(SKIP_1) | instid1(VALU_DEP_1)
	v_fmamk_f32 v75, v22, 0x3f737871, v70
	v_fmac_f32_e32 v70, 0xbf737871, v22
	v_fmac_f32_e32 v70, 0x3f167918, v25
	s_delay_alu instid0(VALU_DEP_1) | instskip(SKIP_2) | instid1(VALU_DEP_2)
	v_fmac_f32_e32 v70, 0x3e9e377a, v86
	v_add_f32_e32 v69, v81, v82
	v_sub_f32_e32 v87, v81, v37
	v_fma_f32 v32, -0.5, v69, v73
	s_delay_alu instid0(VALU_DEP_1) | instskip(SKIP_1) | instid1(VALU_DEP_1)
	v_fmamk_f32 v30, v84, 0x3f737871, v32
	v_dual_fmac_f32 v32, 0xbf737871, v84 :: v_dual_add_f32 v31, v77, v79
	v_fmac_f32_e32 v32, 0xbf167918, v85
	s_delay_alu instid0(VALU_DEP_2) | instskip(NEXT) | instid1(VALU_DEP_1)
	v_fma_f32 v33, -0.5, v31, v78
	v_fmamk_f32 v31, v25, 0xbf737871, v33
	v_fmac_f32_e32 v33, 0x3f737871, v25
	s_delay_alu instid0(VALU_DEP_2) | instskip(NEXT) | instid1(VALU_DEP_2)
	v_fmac_f32_e32 v31, 0xbf167918, v22
	v_fmac_f32_e32 v33, 0x3f167918, v22
	v_dual_add_f32 v22, v76, v78 :: v_dual_fmac_f32 v75, 0xbf167918, v25
	s_delay_alu instid0(VALU_DEP_1) | instskip(NEXT) | instid1(VALU_DEP_4)
	v_dual_mul_f32 v25, v23, v104 :: v_dual_add_f32 v22, v77, v22
	v_fmac_f32_e32 v31, 0x3e9e377a, v71
	s_delay_alu instid0(VALU_DEP_4) | instskip(NEXT) | instid1(VALU_DEP_3)
	v_fmac_f32_e32 v33, 0x3e9e377a, v71
	v_dual_mul_f32 v71, v24, v97 :: v_dual_add_f32 v22, v79, v22
	v_fmac_f32_e32 v30, 0x3f167918, v85
	s_delay_alu instid0(VALU_DEP_2) | instskip(SKIP_1) | instid1(VALU_DEP_1)
	v_fma_f32 v71, v68, v96, -v71
	v_mul_f32_e32 v68, v68, v97
	v_dual_sub_f32 v69, v37, v81 :: v_dual_fmac_f32 v68, v24, v96
	s_delay_alu instid0(VALU_DEP_1) | instskip(SKIP_2) | instid1(VALU_DEP_2)
	v_add_f32_e32 v89, v69, v74
	v_fma_f32 v69, -0.5, v88, v73
	v_sub_f32_e32 v88, v82, v80
	v_fmamk_f32 v74, v85, 0xbf737871, v69
	v_fmac_f32_e32 v69, 0x3f737871, v85
	s_delay_alu instid0(VALU_DEP_2) | instskip(NEXT) | instid1(VALU_DEP_2)
	v_dual_mul_f32 v85, v36, v102 :: v_dual_fmac_f32 v74, 0x3f167918, v84
	v_fmac_f32_e32 v69, 0xbf167918, v84
	s_delay_alu instid0(VALU_DEP_2) | instskip(SKIP_3) | instid1(VALU_DEP_3)
	v_fmac_f32_e32 v85, v26, v101
	v_add_f32_e32 v87, v87, v88
	v_fma_f32 v84, v67, v103, -v25
	v_mul_f32_e32 v25, v29, v99
	v_dual_fmac_f32 v74, 0x3e9e377a, v87 :: v_dual_add_f32 v37, v73, v37
	s_delay_alu instid0(VALU_DEP_1) | instskip(NEXT) | instid1(VALU_DEP_1)
	v_add_f32_e32 v24, v37, v81
	v_add_f32_e32 v24, v24, v82
	v_dual_fmac_f32 v75, 0x3e9e377a, v86 :: v_dual_mul_f32 v86, v118, v99
	s_delay_alu instid0(VALU_DEP_1) | instskip(SKIP_1) | instid1(VALU_DEP_2)
	v_dual_fmac_f32 v86, v29, v98 :: v_dual_fmac_f32 v69, 0x3e9e377a, v87
	v_fma_f32 v87, v118, v98, -v25
	v_sub_f32_e32 v91, v68, v86
	v_mul_f32_e32 v73, v26, v102
	v_sub_f32_e32 v76, v86, v68
	s_delay_alu instid0(VALU_DEP_2) | instskip(SKIP_1) | instid1(VALU_DEP_2)
	v_fma_f32 v73, v36, v101, -v73
	v_add_f32_e32 v36, v84, v71
	v_dual_sub_f32 v78, v73, v87 :: v_dual_mul_f32 v29, v67, v104
	s_delay_alu instid0(VALU_DEP_2) | instskip(SKIP_2) | instid1(VALU_DEP_2)
	v_fma_f32 v25, -0.5, v36, v83
	v_dual_sub_f32 v36, v73, v84 :: v_dual_sub_f32 v37, v87, v71
	v_sub_f32_e32 v77, v84, v73
	v_dual_fmac_f32 v29, v23, v103 :: v_dual_add_f32 v82, v36, v37
	v_add_f32_e32 v36, v80, v24
	s_delay_alu instid0(VALU_DEP_2) | instskip(SKIP_3) | instid1(VALU_DEP_4)
	v_add_f32_e32 v67, v29, v68
	v_dual_add_f32 v37, v66, v22 :: v_dual_sub_f32 v66, v85, v29
	v_sub_f32_e32 v80, v84, v71
	v_fmac_f32_e32 v30, 0x3e9e377a, v89
	v_fma_f32 v24, -0.5, v67, v72
	v_fmac_f32_e32 v32, 0x3e9e377a, v89
	v_add_f32_e32 v90, v66, v76
	v_mul_hi_u32 v89, 0x44d72045, v122
	s_delay_alu instid0(VALU_DEP_4) | instskip(SKIP_1) | instid1(VALU_DEP_2)
	v_dual_add_f32 v67, v73, v87 :: v_dual_fmamk_f32 v22, v78, 0x3f737871, v24
	v_fmac_f32_e32 v24, 0xbf737871, v78
	v_fma_f32 v67, -0.5, v67, v83
	s_delay_alu instid0(VALU_DEP_3) | instskip(SKIP_1) | instid1(VALU_DEP_4)
	v_fmac_f32_e32 v22, 0x3f167918, v80
	v_lshrrev_b32_e32 v89, 5, v89
	v_fmac_f32_e32 v24, 0xbf167918, v80
	s_delay_alu instid0(VALU_DEP_3) | instskip(SKIP_1) | instid1(VALU_DEP_3)
	v_fmac_f32_e32 v22, 0x3e9e377a, v90
	v_add_f32_e32 v88, v85, v86
	v_fmac_f32_e32 v24, 0x3e9e377a, v90
	v_mul_lo_u32 v89, 0x77, v89
	v_sub_f32_e32 v26, v85, v86
	s_delay_alu instid0(VALU_DEP_4) | instskip(SKIP_1) | instid1(VALU_DEP_3)
	v_fma_f32 v66, -0.5, v88, v72
	v_sub_f32_e32 v88, v29, v85
	v_dual_add_f32 v72, v72, v85 :: v_dual_fmamk_f32 v23, v26, 0xbf737871, v25
	v_fmac_f32_e32 v25, 0x3f737871, v26
	s_delay_alu instid0(VALU_DEP_4) | instskip(NEXT) | instid1(VALU_DEP_4)
	v_fmamk_f32 v76, v80, 0xbf737871, v66
	v_add_f32_e32 v88, v88, v91
	v_sub_nc_u32_e32 v89, v122, v89
	v_dual_sub_f32 v79, v71, v87 :: v_dual_fmac_f32 v66, 0x3f737871, v80
	s_delay_alu instid0(VALU_DEP_4) | instskip(NEXT) | instid1(VALU_DEP_3)
	v_fmac_f32_e32 v76, 0x3f167918, v78
	v_add_nc_u32_e32 v91, 0x1dc, v89
	s_delay_alu instid0(VALU_DEP_3) | instskip(NEXT) | instid1(VALU_DEP_3)
	v_dual_add_f32 v79, v77, v79 :: v_dual_fmac_f32 v66, 0xbf167918, v78
	v_fmac_f32_e32 v76, 0x3e9e377a, v88
	v_sub_f32_e32 v81, v29, v68
	s_delay_alu instid0(VALU_DEP_3) | instskip(NEXT) | instid1(VALU_DEP_2)
	v_dual_add_f32 v29, v72, v29 :: v_dual_fmac_f32 v66, 0x3e9e377a, v88
	v_fmamk_f32 v77, v81, 0x3f737871, v67
	v_fmac_f32_e32 v67, 0xbf737871, v81
	v_fmac_f32_e32 v25, 0x3f167918, v81
	s_delay_alu instid0(VALU_DEP_3) | instskip(NEXT) | instid1(VALU_DEP_3)
	v_fmac_f32_e32 v77, 0xbf167918, v26
	v_dual_fmac_f32 v67, 0x3f167918, v26 :: v_dual_add_f32 v26, v73, v83
	v_fmac_f32_e32 v23, 0xbf167918, v81
	s_delay_alu instid0(VALU_DEP_4) | instskip(NEXT) | instid1(VALU_DEP_4)
	v_fmac_f32_e32 v25, 0x3e9e377a, v82
	v_fmac_f32_e32 v77, 0x3e9e377a, v79
	s_delay_alu instid0(VALU_DEP_4) | instskip(SKIP_4) | instid1(VALU_DEP_3)
	v_fmac_f32_e32 v67, 0x3e9e377a, v79
	v_mad_co_u64_u32 v[78:79], null, s16, v89, 0
	v_add_f32_e32 v73, v84, v26
	v_fmac_f32_e32 v23, 0x3e9e377a, v82
	v_add_nc_u32_e32 v82, 0x77, v89
	v_add_f32_e32 v73, v71, v73
	v_mov_b32_e32 v26, v79
	s_delay_alu instid0(VALU_DEP_3) | instskip(NEXT) | instid1(VALU_DEP_3)
	v_mad_co_u64_u32 v[80:81], null, s16, v82, 0
	v_add_f32_e32 v73, v87, v73
	s_delay_alu instid0(VALU_DEP_3) | instskip(SKIP_2) | instid1(VALU_DEP_2)
	v_mad_co_u64_u32 v[71:72], null, s17, v89, v[26:27]
	v_dual_add_f32 v26, v29, v68 :: v_dual_add_nc_u32 v29, 0xee, v89
	v_add_co_u32 v68, vcc_lo, s6, v64
	v_dual_add_f32 v72, v86, v26 :: v_dual_mov_b32 v79, v71
	s_wait_alu 0xfffd
	v_add_co_ci_u32_e32 v71, vcc_lo, s7, v65, vcc_lo
	v_mad_co_u64_u32 v[64:65], null, s16, v29, 0
	v_mov_b32_e32 v26, v81
	v_add_co_u32 v16, vcc_lo, v68, v16
	v_add_nc_u32_e32 v68, 17, v122
	s_wait_alu 0xfffd
	v_add_co_ci_u32_e32 v17, vcc_lo, v71, v17, vcc_lo
	v_mad_co_u64_u32 v[81:82], null, s17, v82, v[26:27]
	v_mov_b32_e32 v26, v65
	v_mul_hi_u32 v65, 0x44d72045, v68
	v_add_nc_u32_e32 v71, 0x165, v89
	v_mad_co_u64_u32 v[85:86], null, s16, v91, 0
	s_delay_alu instid0(VALU_DEP_4) | instskip(NEXT) | instid1(VALU_DEP_3)
	v_mad_co_u64_u32 v[82:83], null, s17, v29, v[26:27]
	v_mad_co_u64_u32 v[83:84], null, s16, v71, 0
	v_lshrrev_b32_e32 v90, 5, v65
	v_lshlrev_b64_e32 v[78:79], 3, v[78:79]
	v_lshlrev_b64_e32 v[80:81], 3, v[80:81]
	v_mov_b32_e32 v65, v82
	s_delay_alu instid0(VALU_DEP_4) | instskip(SKIP_2) | instid1(VALU_DEP_4)
	v_mul_lo_u32 v29, 0x77, v90
	v_mov_b32_e32 v26, v84
	v_add_co_u32 v78, vcc_lo, v16, v78
	v_lshlrev_b64_e32 v[64:65], 3, v[64:65]
	s_wait_alu 0xfffd
	v_add_co_ci_u32_e32 v79, vcc_lo, v17, v79, vcc_lo
	v_mad_co_u64_u32 v[87:88], null, s17, v71, v[26:27]
	v_sub_nc_u32_e32 v29, v68, v29
	v_mov_b32_e32 v26, v86
	v_add_co_u32 v80, vcc_lo, v16, v80
	s_wait_alu 0xfffd
	v_add_co_ci_u32_e32 v81, vcc_lo, v17, v81, vcc_lo
	v_mad_co_u64_u32 v[88:89], null, 0x253, v90, v[29:30]
	v_mad_co_u64_u32 v[89:90], null, s17, v91, v[26:27]
	v_add_co_u32 v64, vcc_lo, v16, v64
	s_wait_alu 0xfffd
	v_add_co_ci_u32_e32 v65, vcc_lo, v17, v65, vcc_lo
	s_delay_alu instid0(VALU_DEP_4)
	v_mad_co_u64_u32 v[90:91], null, s16, v88, 0
	v_dual_mov_b32 v84, v87 :: v_dual_add_nc_u32 v29, 0x77, v88
	global_store_b64 v[78:79], v[72:73], off
	v_dual_mov_b32 v86, v89 :: v_dual_add_nc_u32 v73, 34, v122
	v_add_nc_u32_e32 v78, 0x165, v88
	v_mov_b32_e32 v26, v91
	s_clause 0x1
	global_store_b64 v[80:81], v[24:25], off
	global_store_b64 v[64:65], v[66:67], off
	v_mad_co_u64_u32 v[64:65], null, s16, v29, 0
	v_lshlrev_b64_e32 v[24:25], 3, v[83:84]
	v_lshlrev_b64_e32 v[66:67], 3, v[85:86]
	v_mad_co_u64_u32 v[71:72], null, s17, v88, v[26:27]
	v_add_nc_u32_e32 v79, 0x1dc, v88
	s_delay_alu instid0(VALU_DEP_4)
	v_add_co_u32 v24, vcc_lo, v16, v24
	v_mov_b32_e32 v26, v65
	s_wait_alu 0xfffd
	v_add_co_ci_u32_e32 v25, vcc_lo, v17, v25, vcc_lo
	v_add_co_u32 v65, vcc_lo, v16, v66
	s_wait_alu 0xfffd
	v_add_co_ci_u32_e32 v66, vcc_lo, v17, v67, vcc_lo
	v_mad_co_u64_u32 v[67:68], null, s17, v29, v[26:27]
	v_mul_hi_u32 v26, 0x44d72045, v73
	v_add_nc_u32_e32 v29, 0xee, v88
	s_clause 0x1
	global_store_b64 v[24:25], v[76:77], off
	global_store_b64 v[65:66], v[22:23], off
	v_mov_b32_e32 v91, v71
	v_mad_co_u64_u32 v[71:72], null, s16, v79, 0
	v_mad_co_u64_u32 v[24:25], null, s16, v29, 0
	v_lshrrev_b32_e32 v68, 5, v26
	v_mov_b32_e32 v65, v67
	v_mad_co_u64_u32 v[66:67], null, s16, v78, 0
	v_lshlrev_b64_e32 v[22:23], 3, v[90:91]
	s_delay_alu instid0(VALU_DEP_4)
	v_mul_lo_u32 v76, 0x77, v68
	v_mad_co_u64_u32 v[25:26], null, s17, v29, v[25:26]
	v_lshlrev_b64_e32 v[64:65], 3, v[64:65]
	v_mov_b32_e32 v29, v67
	v_add_co_u32 v22, vcc_lo, v16, v22
	v_sub_nc_u32_e32 v26, v73, v76
	v_lshlrev_b64_e32 v[24:25], 3, v[24:25]
	s_wait_alu 0xfffd
	v_add_co_ci_u32_e32 v23, vcc_lo, v17, v23, vcc_lo
	v_add_co_u32 v64, vcc_lo, v16, v64
	v_mad_co_u64_u32 v[76:77], null, 0x253, v68, v[26:27]
	v_mad_co_u64_u32 v[67:68], null, s17, v78, v[29:30]
	v_mov_b32_e32 v26, v72
	s_wait_alu 0xfffd
	v_add_co_ci_u32_e32 v65, vcc_lo, v17, v65, vcc_lo
	v_add_co_u32 v24, vcc_lo, v16, v24
	s_wait_alu 0xfffd
	v_add_co_ci_u32_e32 v25, vcc_lo, v17, v25, vcc_lo
	v_mad_co_u64_u32 v[72:73], null, s17, v79, v[26:27]
	v_mad_co_u64_u32 v[77:78], null, s16, v76, 0
	s_clause 0x2
	global_store_b64 v[22:23], v[36:37], off
	global_store_b64 v[64:65], v[32:33], off
	;; [unrolled: 1-line block ×3, first 2 shown]
	v_lshlrev_b64_e32 v[22:23], 3, v[66:67]
	v_add_nc_u32_e32 v66, 0x77, v76
	v_add_nc_u32_e32 v67, 0xee, v76
	v_lshlrev_b64_e32 v[25:26], 3, v[71:72]
	v_dual_mov_b32 v24, v78 :: v_dual_add_nc_u32 v69, 51, v122
	s_delay_alu instid0(VALU_DEP_4) | instskip(NEXT) | instid1(VALU_DEP_4)
	v_mad_co_u64_u32 v[36:37], null, s16, v66, 0
	v_mad_co_u64_u32 v[64:65], null, s16, v67, 0
	v_add_co_u32 v22, vcc_lo, v16, v22
	s_delay_alu instid0(VALU_DEP_4) | instskip(SKIP_4) | instid1(VALU_DEP_4)
	v_mad_co_u64_u32 v[32:33], null, s17, v76, v[24:25]
	s_wait_alu 0xfffd
	v_add_co_ci_u32_e32 v23, vcc_lo, v17, v23, vcc_lo
	v_mov_b32_e32 v24, v37
	v_add_co_u32 v25, vcc_lo, v16, v25
	v_dual_mov_b32 v29, v65 :: v_dual_mov_b32 v78, v32
	s_wait_alu 0xfffd
	v_add_co_ci_u32_e32 v26, vcc_lo, v17, v26, vcc_lo
	s_delay_alu instid0(VALU_DEP_3) | instskip(NEXT) | instid1(VALU_DEP_3)
	v_mad_co_u64_u32 v[65:66], null, s17, v66, v[24:25]
	v_mad_co_u64_u32 v[66:67], null, s17, v67, v[29:30]
	v_add_nc_u32_e32 v29, 0x165, v76
	v_lshlrev_b64_e32 v[32:33], 3, v[77:78]
	v_mul_hi_u32 v70, 0x44d72045, v69
	s_clause 0x1
	global_store_b64 v[22:23], v[74:75], off
	global_store_b64 v[25:26], v[30:31], off
	v_mov_b32_e32 v37, v65
	v_mad_co_u64_u32 v[67:68], null, s16, v29, 0
	v_mov_b32_e32 v65, v66
	v_add_co_u32 v32, vcc_lo, v16, v32
	s_wait_alu 0xfffd
	v_add_co_ci_u32_e32 v33, vcc_lo, v17, v33, vcc_lo
	s_delay_alu instid0(VALU_DEP_3)
	v_lshlrev_b64_e32 v[25:26], 3, v[64:65]
	v_mov_b32_e32 v24, v68
	v_lshrrev_b32_e32 v31, 5, v70
	global_store_b64 v[32:33], v[27:28], off
	v_add_nc_u32_e32 v33, 0x1dc, v76
	v_lshlrev_b64_e32 v[22:23], 3, v[36:37]
	v_mad_co_u64_u32 v[27:28], null, s17, v29, v[24:25]
	v_mul_lo_u32 v24, 0x77, v31
	s_delay_alu instid0(VALU_DEP_4) | instskip(NEXT) | instid1(VALU_DEP_4)
	v_mad_co_u64_u32 v[28:29], null, s16, v33, 0
	v_add_co_u32 v22, vcc_lo, v16, v22
	s_wait_alu 0xfffd
	v_add_co_ci_u32_e32 v23, vcc_lo, v17, v23, vcc_lo
	v_mov_b32_e32 v68, v27
	v_sub_nc_u32_e32 v24, v69, v24
	v_add_co_u32 v25, vcc_lo, v16, v25
	v_mov_b32_e32 v27, v29
	s_delay_alu instid0(VALU_DEP_4) | instskip(SKIP_4) | instid1(VALU_DEP_4)
	v_lshlrev_b64_e32 v[29:30], 3, v[67:68]
	s_wait_alu 0xfffd
	v_add_co_ci_u32_e32 v26, vcc_lo, v17, v26, vcc_lo
	v_mad_co_u64_u32 v[31:32], null, 0x253, v31, v[24:25]
	v_mad_co_u64_u32 v[32:33], null, s17, v33, v[27:28]
	v_add_co_u32 v36, vcc_lo, v16, v29
	s_wait_alu 0xfffd
	v_add_co_ci_u32_e32 v37, vcc_lo, v17, v30, vcc_lo
	s_delay_alu instid0(VALU_DEP_4)
	v_mad_co_u64_u32 v[64:65], null, s16, v31, 0
	s_clause 0x2
	global_store_b64 v[22:23], v[10:11], off
	global_store_b64 v[25:26], v[12:13], off
	;; [unrolled: 1-line block ×3, first 2 shown]
	v_add_nc_u32_e32 v15, 0x77, v31
	v_dual_mov_b32 v29, v32 :: v_dual_add_nc_u32 v26, 0x44, v122
	v_dual_mov_b32 v12, v65 :: v_dual_add_nc_u32 v27, 0xee, v31
	s_delay_alu instid0(VALU_DEP_3) | instskip(NEXT) | instid1(VALU_DEP_3)
	v_mad_co_u64_u32 v[13:14], null, s16, v15, 0
	v_mul_hi_u32 v25, 0x44d72045, v26
	s_delay_alu instid0(VALU_DEP_4) | instskip(SKIP_1) | instid1(VALU_DEP_4)
	v_lshlrev_b64_e32 v[10:11], 3, v[28:29]
	v_add_nc_u32_e32 v30, 0x1dc, v31
	v_mad_co_u64_u32 v[22:23], null, s17, v31, v[12:13]
	s_delay_alu instid0(VALU_DEP_3)
	v_add_co_u32 v10, vcc_lo, v16, v10
	v_mad_co_u64_u32 v[23:24], null, s16, v27, 0
	v_lshrrev_b32_e32 v28, 5, v25
	s_wait_alu 0xfffd
	v_add_co_ci_u32_e32 v11, vcc_lo, v17, v11, vcc_lo
	v_dual_mov_b32 v12, v14 :: v_dual_mov_b32 v65, v22
	s_delay_alu instid0(VALU_DEP_3)
	v_mul_lo_u32 v22, 0x77, v28
	global_store_b64 v[10:11], v[8:9], off
	v_mov_b32_e32 v10, v24
	v_mad_co_u64_u32 v[14:15], null, s17, v15, v[12:13]
	v_lshlrev_b64_e32 v[11:12], 3, v[64:65]
	v_add_nc_u32_e32 v15, 0x165, v31
	v_add_nc_u32_e32 v31, 0x55, v122
	s_delay_alu instid0(VALU_DEP_3) | instskip(SKIP_1) | instid1(VALU_DEP_4)
	v_mad_co_u64_u32 v[24:25], null, s17, v27, v[10:11]
	v_sub_nc_u32_e32 v10, v26, v22
	v_mad_co_u64_u32 v[8:9], null, s16, v15, 0
	v_mad_co_u64_u32 v[25:26], null, s16, v30, 0
	s_delay_alu instid0(VALU_DEP_3) | instskip(SKIP_4) | instid1(VALU_DEP_3)
	v_mad_co_u64_u32 v[27:28], null, 0x253, v28, v[10:11]
	v_add_co_u32 v10, vcc_lo, v16, v11
	s_wait_alu 0xfffd
	v_add_co_ci_u32_e32 v11, vcc_lo, v17, v12, vcc_lo
	v_lshlrev_b64_e32 v[12:13], 3, v[13:14]
	v_mad_co_u64_u32 v[14:15], null, s17, v15, v[9:10]
	v_mad_co_u64_u32 v[28:29], null, s16, v27, 0
	global_store_b64 v[10:11], v[34:35], off
	v_add_co_u32 v12, vcc_lo, v16, v12
	s_wait_alu 0xfffd
	v_add_co_ci_u32_e32 v13, vcc_lo, v17, v13, vcc_lo
	v_lshlrev_b64_e32 v[10:11], 3, v[23:24]
	v_dual_mov_b32 v9, v26 :: v_dual_add_nc_u32 v24, 0x77, v27
	global_store_b64 v[12:13], v[62:63], off
	v_mov_b32_e32 v12, v29
	v_add_nc_u32_e32 v32, 0x165, v27
	v_mad_co_u64_u32 v[22:23], null, s17, v30, v[9:10]
	v_mov_b32_e32 v9, v14
	s_delay_alu instid0(VALU_DEP_4) | instskip(SKIP_4) | instid1(VALU_DEP_4)
	v_mad_co_u64_u32 v[12:13], null, s17, v27, v[12:13]
	v_add_co_u32 v10, vcc_lo, v16, v10
	s_wait_alu 0xfffd
	v_add_co_ci_u32_e32 v11, vcc_lo, v17, v11, vcc_lo
	v_mov_b32_e32 v26, v22
	v_dual_mov_b32 v29, v12 :: v_dual_add_nc_u32 v30, 0xee, v27
	v_lshlrev_b64_e32 v[8:9], 3, v[8:9]
	v_mad_co_u64_u32 v[12:13], null, s16, v24, 0
	global_store_b64 v[10:11], v[60:61], off
	v_lshlrev_b64_e32 v[10:11], 3, v[25:26]
	v_lshlrev_b64_e32 v[14:15], 3, v[28:29]
	v_mad_co_u64_u32 v[22:23], null, s16, v30, 0
	v_mul_hi_u32 v26, 0x44d72045, v31
	v_add_co_u32 v8, vcc_lo, v16, v8
	s_wait_alu 0xfffd
	v_add_co_ci_u32_e32 v9, vcc_lo, v17, v9, vcc_lo
	v_add_co_u32 v10, vcc_lo, v16, v10
	v_mad_co_u64_u32 v[24:25], null, s17, v24, v[13:14]
	s_wait_alu 0xfffd
	v_add_co_ci_u32_e32 v11, vcc_lo, v17, v11, vcc_lo
	v_add_co_u32 v14, vcc_lo, v16, v14
	v_mov_b32_e32 v13, v23
	v_lshrrev_b32_e32 v33, 5, v26
	v_mad_co_u64_u32 v[25:26], null, s16, v32, 0
	s_wait_alu 0xfffd
	v_add_co_ci_u32_e32 v15, vcc_lo, v17, v15, vcc_lo
	v_mad_co_u64_u32 v[28:29], null, s17, v30, v[13:14]
	v_mov_b32_e32 v13, v24
	v_mul_lo_u32 v24, 0x77, v33
	s_clause 0x2
	global_store_b64 v[8:9], v[56:57], off
	global_store_b64 v[10:11], v[54:55], off
	;; [unrolled: 1-line block ×3, first 2 shown]
	v_dual_mov_b32 v10, v26 :: v_dual_add_nc_u32 v15, 0x1dc, v27
	v_lshlrev_b64_e32 v[8:9], 3, v[12:13]
	v_mov_b32_e32 v23, v28
	v_sub_nc_u32_e32 v11, v31, v24
	v_add_nc_u32_e32 v31, 0x66, v122
	s_delay_alu instid0(VALU_DEP_3) | instskip(SKIP_1) | instid1(VALU_DEP_4)
	v_lshlrev_b64_e32 v[22:23], 3, v[22:23]
	v_add_co_u32 v8, vcc_lo, v16, v8
	v_mad_co_u64_u32 v[12:13], null, s17, v32, v[10:11]
	v_mad_co_u64_u32 v[13:14], null, s16, v15, 0
	s_wait_alu 0xfffd
	v_add_co_ci_u32_e32 v9, vcc_lo, v17, v9, vcc_lo
	v_add_co_u32 v22, vcc_lo, v16, v22
	s_delay_alu instid0(VALU_DEP_4) | instskip(NEXT) | instid1(VALU_DEP_4)
	v_mad_co_u64_u32 v[10:11], null, 0x253, v33, v[11:12]
	v_dual_mov_b32 v11, v14 :: v_dual_mov_b32 v26, v12
	s_wait_alu 0xfffd
	v_add_co_ci_u32_e32 v23, vcc_lo, v17, v23, vcc_lo
	s_clause 0x1
	global_store_b64 v[8:9], v[48:49], off
	global_store_b64 v[22:23], v[50:51], off
	v_mad_co_u64_u32 v[27:28], null, s16, v10, 0
	v_mad_co_u64_u32 v[11:12], null, s17, v15, v[11:12]
	v_lshlrev_b64_e32 v[24:25], 3, v[25:26]
	v_add_nc_u32_e32 v15, 0x77, v10
	v_add_nc_u32_e32 v26, 0xee, v10
	v_mov_b32_e32 v12, v28
	v_mov_b32_e32 v14, v11
	s_delay_alu instid0(VALU_DEP_4) | instskip(NEXT) | instid1(VALU_DEP_3)
	v_mad_co_u64_u32 v[29:30], null, s16, v15, 0
	v_mad_co_u64_u32 v[11:12], null, s17, v10, v[12:13]
	s_delay_alu instid0(VALU_DEP_3)
	v_lshlrev_b64_e32 v[12:13], 3, v[13:14]
	v_add_co_u32 v24, vcc_lo, v16, v24
	s_wait_alu 0xfffd
	v_add_co_ci_u32_e32 v25, vcc_lo, v17, v25, vcc_lo
	v_mov_b32_e32 v8, v30
	v_mov_b32_e32 v28, v11
	v_add_co_u32 v11, vcc_lo, v16, v12
	s_wait_alu 0xfffd
	v_add_co_ci_u32_e32 v12, vcc_lo, v17, v13, vcc_lo
	s_delay_alu instid0(VALU_DEP_3)
	v_lshlrev_b64_e32 v[13:14], 3, v[27:28]
	v_add_nc_u32_e32 v27, 0x165, v10
	v_mad_co_u64_u32 v[8:9], null, s17, v15, v[8:9]
	global_store_b64 v[24:25], v[52:53], off
	v_mad_co_u64_u32 v[22:23], null, s16, v27, 0
	v_add_co_u32 v13, vcc_lo, v16, v13
	v_mov_b32_e32 v30, v8
	v_mad_co_u64_u32 v[8:9], null, s16, v26, 0
	s_wait_alu 0xfffd
	v_add_co_ci_u32_e32 v14, vcc_lo, v17, v14, vcc_lo
	v_mov_b32_e32 v15, v23
	v_mul_hi_u32 v23, 0x44d72045, v31
	v_lshlrev_b64_e32 v[24:25], 3, v[29:30]
	v_add_nc_u32_e32 v29, 0x1dc, v10
	v_mad_co_u64_u32 v[9:10], null, s17, v26, v[9:10]
	v_mad_co_u64_u32 v[26:27], null, s17, v27, v[15:16]
	s_delay_alu instid0(VALU_DEP_3)
	v_mad_co_u64_u32 v[27:28], null, s16, v29, 0
	v_lshrrev_b32_e32 v30, 5, v23
	s_clause 0x1
	global_store_b64 v[11:12], v[44:45], off
	global_store_b64 v[13:14], v[46:47], off
	v_lshlrev_b64_e32 v[8:9], 3, v[8:9]
	v_add_co_u32 v24, vcc_lo, v16, v24
	v_mul_lo_u32 v15, 0x77, v30
	v_dual_mov_b32 v23, v26 :: v_dual_mov_b32 v10, v28
	s_wait_alu 0xfffd
	v_add_co_ci_u32_e32 v25, vcc_lo, v17, v25, vcc_lo
	v_add_co_u32 v8, vcc_lo, v16, v8
	s_delay_alu instid0(VALU_DEP_3)
	v_lshlrev_b64_e32 v[12:13], 3, v[22:23]
	v_sub_nc_u32_e32 v11, v31, v15
	s_wait_alu 0xfffd
	v_add_co_ci_u32_e32 v9, vcc_lo, v17, v9, vcc_lo
	global_store_b64 v[24:25], v[40:41], off
	v_mad_co_u64_u32 v[14:15], null, s17, v29, v[10:11]
	v_mad_co_u64_u32 v[10:11], null, 0x253, v30, v[11:12]
	v_add_co_u32 v11, vcc_lo, v16, v12
	s_wait_alu 0xfffd
	v_add_co_ci_u32_e32 v12, vcc_lo, v17, v13, vcc_lo
	s_delay_alu instid0(VALU_DEP_4)
	v_mov_b32_e32 v28, v14
	global_store_b64 v[8:9], v[38:39], off
	v_mad_co_u64_u32 v[13:14], null, s16, v10, 0
	v_add_nc_u32_e32 v24, 0x77, v10
	v_lshlrev_b64_e32 v[8:9], 3, v[27:28]
	v_add_nc_u32_e32 v27, 0xee, v10
	global_store_b64 v[11:12], v[42:43], off
	v_add_nc_u32_e32 v30, 0x1dc, v10
	v_mad_co_u64_u32 v[11:12], null, s16, v24, 0
	v_mad_co_u64_u32 v[22:23], null, s16, v27, 0
	;; [unrolled: 1-line block ×3, first 2 shown]
	v_add_nc_u32_e32 v15, 0x165, v10
	v_add_co_u32 v8, vcc_lo, v16, v8
	v_mad_co_u64_u32 v[24:25], null, s17, v24, v[12:13]
	v_mov_b32_e32 v12, v23
	s_delay_alu instid0(VALU_DEP_4) | instskip(SKIP_2) | instid1(VALU_DEP_3)
	v_mad_co_u64_u32 v[25:26], null, s16, v15, 0
	s_wait_alu 0xfffd
	v_add_co_ci_u32_e32 v9, vcc_lo, v17, v9, vcc_lo
	v_mad_co_u64_u32 v[27:28], null, s17, v27, v[12:13]
	v_mad_co_u64_u32 v[28:29], null, s16, v30, 0
	global_store_b64 v[8:9], v[20:21], off
	v_lshlrev_b64_e32 v[9:10], 3, v[13:14]
	v_mov_b32_e32 v8, v26
	v_dual_mov_b32 v12, v24 :: v_dual_mov_b32 v23, v27
	s_delay_alu instid0(VALU_DEP_2) | instskip(SKIP_2) | instid1(VALU_DEP_4)
	v_mad_co_u64_u32 v[13:14], null, s17, v15, v[8:9]
	v_mov_b32_e32 v8, v29
	v_add_co_u32 v9, vcc_lo, v16, v9
	v_lshlrev_b64_e32 v[11:12], 3, v[11:12]
	v_lshlrev_b64_e32 v[20:21], 3, v[22:23]
	s_wait_alu 0xfffd
	v_add_co_ci_u32_e32 v10, vcc_lo, v17, v10, vcc_lo
	v_mov_b32_e32 v26, v13
	v_mad_co_u64_u32 v[14:15], null, s17, v30, v[8:9]
	v_add_co_u32 v11, vcc_lo, v16, v11
	s_wait_alu 0xfffd
	v_add_co_ci_u32_e32 v12, vcc_lo, v17, v12, vcc_lo
	v_lshlrev_b64_e32 v[22:23], 3, v[25:26]
	v_add_co_u32 v13, vcc_lo, v16, v20
	v_mov_b32_e32 v29, v14
	s_wait_alu 0xfffd
	v_add_co_ci_u32_e32 v14, vcc_lo, v17, v21, vcc_lo
	s_delay_alu instid0(VALU_DEP_4) | instskip(NEXT) | instid1(VALU_DEP_3)
	v_add_co_u32 v22, vcc_lo, v16, v22
	v_lshlrev_b64_e32 v[20:21], 3, v[28:29]
	s_wait_alu 0xfffd
	v_add_co_ci_u32_e32 v23, vcc_lo, v17, v23, vcc_lo
	s_delay_alu instid0(VALU_DEP_2) | instskip(SKIP_1) | instid1(VALU_DEP_3)
	v_add_co_u32 v15, vcc_lo, v16, v20
	s_wait_alu 0xfffd
	v_add_co_ci_u32_e32 v16, vcc_lo, v17, v21, vcc_lo
	s_clause 0x4
	global_store_b64 v[9:10], v[18:19], off
	global_store_b64 v[11:12], v[0:1], off
	;; [unrolled: 1-line block ×5, first 2 shown]
.LBB0_22:
	s_nop 0
	s_sendmsg sendmsg(MSG_DEALLOC_VGPRS)
	s_endpgm
	.section	.rodata,"a",@progbits
	.p2align	6, 0x0
	.amdhsa_kernel fft_rtc_back_len595_factors_7_17_5_wgs_51_tpt_17_halfLds_sp_op_CI_CI_sbrr_dirReg
		.amdhsa_group_segment_fixed_size 0
		.amdhsa_private_segment_fixed_size 0
		.amdhsa_kernarg_size 104
		.amdhsa_user_sgpr_count 2
		.amdhsa_user_sgpr_dispatch_ptr 0
		.amdhsa_user_sgpr_queue_ptr 0
		.amdhsa_user_sgpr_kernarg_segment_ptr 1
		.amdhsa_user_sgpr_dispatch_id 0
		.amdhsa_user_sgpr_private_segment_size 0
		.amdhsa_wavefront_size32 1
		.amdhsa_uses_dynamic_stack 0
		.amdhsa_enable_private_segment 0
		.amdhsa_system_sgpr_workgroup_id_x 1
		.amdhsa_system_sgpr_workgroup_id_y 0
		.amdhsa_system_sgpr_workgroup_id_z 0
		.amdhsa_system_sgpr_workgroup_info 0
		.amdhsa_system_vgpr_workitem_id 0
		.amdhsa_next_free_vgpr 224
		.amdhsa_next_free_sgpr 43
		.amdhsa_reserve_vcc 1
		.amdhsa_float_round_mode_32 0
		.amdhsa_float_round_mode_16_64 0
		.amdhsa_float_denorm_mode_32 3
		.amdhsa_float_denorm_mode_16_64 3
		.amdhsa_fp16_overflow 0
		.amdhsa_workgroup_processor_mode 1
		.amdhsa_memory_ordered 1
		.amdhsa_forward_progress 0
		.amdhsa_round_robin_scheduling 0
		.amdhsa_exception_fp_ieee_invalid_op 0
		.amdhsa_exception_fp_denorm_src 0
		.amdhsa_exception_fp_ieee_div_zero 0
		.amdhsa_exception_fp_ieee_overflow 0
		.amdhsa_exception_fp_ieee_underflow 0
		.amdhsa_exception_fp_ieee_inexact 0
		.amdhsa_exception_int_div_zero 0
	.end_amdhsa_kernel
	.text
.Lfunc_end0:
	.size	fft_rtc_back_len595_factors_7_17_5_wgs_51_tpt_17_halfLds_sp_op_CI_CI_sbrr_dirReg, .Lfunc_end0-fft_rtc_back_len595_factors_7_17_5_wgs_51_tpt_17_halfLds_sp_op_CI_CI_sbrr_dirReg
                                        ; -- End function
	.section	.AMDGPU.csdata,"",@progbits
; Kernel info:
; codeLenInByte = 32088
; NumSgprs: 45
; NumVgprs: 224
; ScratchSize: 0
; MemoryBound: 0
; FloatMode: 240
; IeeeMode: 1
; LDSByteSize: 0 bytes/workgroup (compile time only)
; SGPRBlocks: 5
; VGPRBlocks: 27
; NumSGPRsForWavesPerEU: 45
; NumVGPRsForWavesPerEU: 224
; Occupancy: 6
; WaveLimiterHint : 1
; COMPUTE_PGM_RSRC2:SCRATCH_EN: 0
; COMPUTE_PGM_RSRC2:USER_SGPR: 2
; COMPUTE_PGM_RSRC2:TRAP_HANDLER: 0
; COMPUTE_PGM_RSRC2:TGID_X_EN: 1
; COMPUTE_PGM_RSRC2:TGID_Y_EN: 0
; COMPUTE_PGM_RSRC2:TGID_Z_EN: 0
; COMPUTE_PGM_RSRC2:TIDIG_COMP_CNT: 0
	.text
	.p2alignl 7, 3214868480
	.fill 96, 4, 3214868480
	.type	__hip_cuid_894da172cc28e629,@object ; @__hip_cuid_894da172cc28e629
	.section	.bss,"aw",@nobits
	.globl	__hip_cuid_894da172cc28e629
__hip_cuid_894da172cc28e629:
	.byte	0                               ; 0x0
	.size	__hip_cuid_894da172cc28e629, 1

	.ident	"AMD clang version 19.0.0git (https://github.com/RadeonOpenCompute/llvm-project roc-6.4.0 25133 c7fe45cf4b819c5991fe208aaa96edf142730f1d)"
	.section	".note.GNU-stack","",@progbits
	.addrsig
	.addrsig_sym __hip_cuid_894da172cc28e629
	.amdgpu_metadata
---
amdhsa.kernels:
  - .args:
      - .actual_access:  read_only
        .address_space:  global
        .offset:         0
        .size:           8
        .value_kind:     global_buffer
      - .offset:         8
        .size:           8
        .value_kind:     by_value
      - .actual_access:  read_only
        .address_space:  global
        .offset:         16
        .size:           8
        .value_kind:     global_buffer
      - .actual_access:  read_only
        .address_space:  global
        .offset:         24
        .size:           8
        .value_kind:     global_buffer
      - .actual_access:  read_only
        .address_space:  global
        .offset:         32
        .size:           8
        .value_kind:     global_buffer
      - .offset:         40
        .size:           8
        .value_kind:     by_value
      - .actual_access:  read_only
        .address_space:  global
        .offset:         48
        .size:           8
        .value_kind:     global_buffer
      - .actual_access:  read_only
        .address_space:  global
        .offset:         56
        .size:           8
        .value_kind:     global_buffer
      - .offset:         64
        .size:           4
        .value_kind:     by_value
      - .actual_access:  read_only
        .address_space:  global
        .offset:         72
        .size:           8
        .value_kind:     global_buffer
      - .actual_access:  read_only
        .address_space:  global
        .offset:         80
        .size:           8
        .value_kind:     global_buffer
      - .actual_access:  read_only
        .address_space:  global
        .offset:         88
        .size:           8
        .value_kind:     global_buffer
      - .actual_access:  write_only
        .address_space:  global
        .offset:         96
        .size:           8
        .value_kind:     global_buffer
    .group_segment_fixed_size: 0
    .kernarg_segment_align: 8
    .kernarg_segment_size: 104
    .language:       OpenCL C
    .language_version:
      - 2
      - 0
    .max_flat_workgroup_size: 51
    .name:           fft_rtc_back_len595_factors_7_17_5_wgs_51_tpt_17_halfLds_sp_op_CI_CI_sbrr_dirReg
    .private_segment_fixed_size: 0
    .sgpr_count:     45
    .sgpr_spill_count: 0
    .symbol:         fft_rtc_back_len595_factors_7_17_5_wgs_51_tpt_17_halfLds_sp_op_CI_CI_sbrr_dirReg.kd
    .uniform_work_group_size: 1
    .uses_dynamic_stack: false
    .vgpr_count:     224
    .vgpr_spill_count: 0
    .wavefront_size: 32
    .workgroup_processor_mode: 1
amdhsa.target:   amdgcn-amd-amdhsa--gfx1201
amdhsa.version:
  - 1
  - 2
...

	.end_amdgpu_metadata
